;; amdgpu-corpus repo=zjin-lcf/HeCBench kind=compiled arch=gfx950 opt=O3
	.amdgcn_target "amdgcn-amd-amdhsa--gfx950"
	.amdhsa_code_object_version 6
	.text
	.protected	_Z15updatePressuresP14fluid_particlePK5param ; -- Begin function _Z15updatePressuresP14fluid_particlePK5param
	.globl	_Z15updatePressuresP14fluid_particlePK5param
	.p2align	8
	.type	_Z15updatePressuresP14fluid_particlePK5param,@function
_Z15updatePressuresP14fluid_particlePK5param: ; @_Z15updatePressuresP14fluid_particlePK5param
; %bb.0:
	s_load_dwordx2 s[12:13], s[0:1], 0x8
	s_load_dword s3, s[0:1], 0x1c
	s_waitcnt lgkmcnt(0)
	s_and_b32 s3, s3, 0xffff
	s_load_dword s33, s[12:13], 0x4c
	s_mul_i32 s2, s2, s3
	v_add_u32_e32 v0, s2, v0
	s_waitcnt lgkmcnt(0)
	v_cmp_gt_i32_e32 vcc, s33, v0
	s_and_saveexec_b64 s[2:3], vcc
	s_cbranch_execz .LBB0_13
; %bb.1:
	s_load_dwordx2 s[0:1], s[0:1], 0x0
	s_movk_i32 s2, 0x70
	s_cmp_lt_i32 s33, 1
	s_waitcnt lgkmcnt(0)
	v_mov_b64_e32 v[2:3], s[0:1]
	v_mad_i64_i32 v[14:15], s[2:3], v0, s2, v[2:3]
	global_load_dwordx2 v[0:1], v[14:15], off
	s_cbranch_scc1 .LBB0_12
; %bb.2:
	s_load_dwordx2 s[14:15], s[12:13], 0x18
	s_load_dwordx2 s[16:17], s[12:13], 0x28
	;; [unrolled: 1-line block ×3, first 2 shown]
	v_mov_b32_e32 v2, 0x54442d18
	v_mov_b32_e32 v3, 0x400921fb
	s_waitcnt lgkmcnt(0)
	v_mul_f64 v[2:3], s[14:15], v[2:3]
	v_mul_f64 v[2:3], s[14:15], v[2:3]
	;; [unrolled: 1-line block ×3, first 2 shown]
	global_load_dwordx4 v[2:5], v[14:15], off offset:48
	global_load_dwordx4 v[6:9], v[14:15], off offset:32
	;; [unrolled: 1-line block ×3, first 2 shown]
	v_div_scale_f64 v[18:19], s[2:3], v[16:17], v[16:17], 1.0
	v_rcp_f64_e32 v[20:21], v[18:19]
	s_add_u32 s20, s0, 32
	s_mov_b32 s22, 0
	s_mov_b32 s24, 0
	v_fma_f64 v[22:23], -v[18:19], v[20:21], 1.0
	v_fmac_f64_e32 v[20:21], v[20:21], v[22:23]
	v_fma_f64 v[22:23], -v[18:19], v[20:21], 1.0
	v_fmac_f64_e32 v[20:21], v[20:21], v[22:23]
	v_div_scale_f64 v[22:23], vcc, 1.0, v[16:17], 1.0
	v_mul_f64 v[24:25], v[22:23], v[20:21]
	v_fma_f64 v[18:19], -v[18:19], v[24:25], v[22:23]
	v_mul_f64 v[22:23], s[14:15], s[14:15]
	v_div_scale_f64 v[26:27], s[2:3], v[22:23], v[22:23], -1.0
	v_rcp_f64_e32 v[28:29], v[26:27]
	v_div_fmas_f64 v[18:19], v[18:19], v[20:21], v[24:25]
	s_mov_b32 s26, 0x55555555
	s_mov_b32 s28, 0x4222de17
	v_fma_f64 v[20:21], -v[26:27], v[28:29], 1.0
	v_fmac_f64_e32 v[28:29], v[28:29], v[20:21]
	v_fma_f64 v[20:21], -v[26:27], v[28:29], 1.0
	v_fmac_f64_e32 v[28:29], v[28:29], v[20:21]
	v_div_scale_f64 v[20:21], vcc, -1.0, v[22:23], -1.0
	v_mul_f64 v[24:25], v[20:21], v[28:29]
	v_fma_f64 v[20:21], -v[26:27], v[24:25], v[20:21]
	s_mov_b32 s30, 0xfefa39ef
	s_nop 0
	v_div_fmas_f64 v[20:21], v[20:21], v[28:29], v[24:25]
	s_mov_b32 s34, 0x3b39803f
	s_mov_b32 s38, 0xd5df274d
	;; [unrolled: 1-line block ×7, first 2 shown]
	v_div_fixup_f64 v[16:17], v[18:19], v[16:17], 1.0
	v_mul_f64 v[18:19], s[14:15], 4.0
	v_div_fixup_f64 v[20:21], v[20:21], v[22:23], -1.0
	s_addc_u32 s21, s1, 0
	s_brev_b32 s23, 8
	v_mov_b32_e32 v70, 0x260
	s_mov_b32 s25, 0xc0080000
	s_mov_b32 s27, 0x3fe55555
	;; [unrolled: 1-line block ×7, first 2 shown]
	s_movk_i32 s56, 0x204
	s_mov_b32 s41, 0x7ff00000
	s_mov_b32 s43, 0x3ff71547
	s_mov_b32 s45, 0xbfe62e42
	s_mov_b32 s47, 0xbc7abc9e
	s_mov_b32 s49, 0x3e5ade15
	s_mov_b32 s51, 0x40900000
	s_mov_b32 s53, 0xc090cc00
	s_brev_b32 s57, -2
	v_mov_b32_e32 v71, 0x100
	v_mov_b32_e32 v72, 0xffffff80
	;; [unrolled: 1-line block ×40, first 2 shown]
	s_branch .LBB0_5
.LBB0_3:                                ;   in Loop: Header=BB0_5 Depth=1
	s_or_b64 exec, exec, s[0:1]
	v_mul_f64 v[68:69], v[16:17], v[68:69]
.LBB0_4:                                ;   in Loop: Header=BB0_5 Depth=1
	s_or_b64 exec, exec, s[2:3]
	s_waitcnt lgkmcnt(0)
	v_add_f64 v[66:67], v[2:3], -s[8:9]
	v_mul_f64 v[68:69], s[18:19], v[68:69]
	v_add_f64 v[76:77], v[8:9], -s[6:7]
	v_mul_f64 v[66:67], v[66:67], v[68:69]
	;; [unrolled: 2-line block ×3, first 2 shown]
	v_mul_f64 v[62:63], v[62:63], v[66:67]
	s_add_i32 s33, s33, -1
	v_mul_f64 v[64:65], v[64:65], v[68:69]
	v_fmac_f64_e32 v[62:63], v[58:59], v[76:77]
	s_add_u32 s20, s20, 0x70
	v_fmac_f64_e32 v[62:63], v[60:61], v[64:65]
	s_addc_u32 s21, s21, 0
	s_cmp_eq_u32 s33, 0
	v_fmac_f64_e32 v[0:1], s[16:17], v[62:63]
	s_cbranch_scc1 .LBB0_12
.LBB0_5:                                ; =>This Inner Loop Header: Depth=1
	s_add_u32 s8, s20, -16
	s_addc_u32 s9, s21, -1
	s_load_dwordx8 s[0:7], s[8:9], 0x0
	s_waitcnt vmcnt(0) lgkmcnt(0)
	v_add_f64 v[62:63], v[12:13], -s[2:3]
	v_add_f64 v[58:59], v[10:11], -s[0:1]
	v_mul_f64 v[64:65], v[62:63], v[62:63]
	v_add_f64 v[60:61], v[6:7], -s[4:5]
	v_fmac_f64_e32 v[64:65], v[58:59], v[58:59]
	v_fmac_f64_e32 v[64:65], v[60:61], v[60:61]
	v_cmp_gt_f64_e32 vcc, s[22:23], v[64:65]
	s_load_dwordx4 s[8:11], s[20:21], 0x10
	s_nop 0
	v_cndmask_b32_e32 v57, 0, v71, vcc
	v_ldexp_f64 v[64:65], v[64:65], v57
	v_rsq_f64_e32 v[66:67], v[64:65]
	v_cndmask_b32_e32 v57, 0, v72, vcc
	v_cmp_class_f64_e32 vcc, v[64:65], v70
	v_mul_f64 v[68:69], v[64:65], v[66:67]
	v_mul_f64 v[66:67], v[66:67], 0.5
	v_fma_f64 v[76:77], -v[66:67], v[68:69], 0.5
	v_fmac_f64_e32 v[68:69], v[68:69], v[76:77]
	v_fmac_f64_e32 v[66:67], v[66:67], v[76:77]
	v_fma_f64 v[76:77], -v[68:69], v[68:69], v[64:65]
	v_fmac_f64_e32 v[68:69], v[76:77], v[66:67]
	v_fma_f64 v[76:77], -v[68:69], v[68:69], v[64:65]
	v_fmac_f64_e32 v[68:69], v[76:77], v[66:67]
	v_ldexp_f64 v[66:67], v[68:69], v57
	v_cndmask_b32_e32 v65, v67, v65, vcc
	v_cndmask_b32_e32 v64, v66, v64, vcc
	v_div_scale_f64 v[66:67], s[0:1], s[14:15], s[14:15], v[64:65]
	v_rcp_f64_e32 v[68:69], v[66:67]
	s_nop 0
	v_fma_f64 v[76:77], -v[66:67], v[68:69], 1.0
	v_fmac_f64_e32 v[68:69], v[68:69], v[76:77]
	v_fma_f64 v[76:77], -v[66:67], v[68:69], 1.0
	v_fmac_f64_e32 v[68:69], v[68:69], v[76:77]
	v_div_scale_f64 v[76:77], vcc, v[64:65], s[14:15], v[64:65]
	v_mul_f64 v[78:79], v[76:77], v[68:69]
	v_fma_f64 v[66:67], -v[66:67], v[78:79], v[76:77]
	s_nop 1
	v_div_fmas_f64 v[66:67], v[66:67], v[68:69], v[78:79]
	v_div_fixup_f64 v[66:67], v[66:67], s[14:15], v[64:65]
	v_cmp_nle_f64_e32 vcc, 2.0, v[66:67]
	v_mov_b64_e32 v[68:69], 0
	s_and_saveexec_b64 s[2:3], vcc
	s_cbranch_execz .LBB0_4
; %bb.6:                                ;   in Loop: Header=BB0_5 Depth=1
	v_cmp_ngt_f64_e32 vcc, 1.0, v[66:67]
                                        ; implicit-def: $vgpr68_vgpr69
	s_and_saveexec_b64 s[0:1], vcc
	s_xor_b64 s[4:5], exec, s[0:1]
	s_cbranch_execz .LBB0_10
; %bb.7:                                ;   in Loop: Header=BB0_5 Depth=1
	v_cmp_le_f64_e32 vcc, 1.0, v[66:67]
	v_cmp_gt_f64_e64 s[0:1], 2.0, v[66:67]
	s_and_b64 s[0:1], vcc, s[0:1]
	v_mov_b64_e32 v[68:69], 0
	s_and_saveexec_b64 s[54:55], s[0:1]
	s_cbranch_execz .LBB0_9
; %bb.8:                                ;   in Loop: Header=BB0_5 Depth=1
	v_mul_f64 v[64:65], v[64:65], v[18:19]
	v_div_scale_f64 v[68:69], s[0:1], v[64:65], v[64:65], s[24:25]
	v_rcp_f64_e32 v[76:77], v[68:69]
	v_div_scale_f64 v[78:79], vcc, s[24:25], v[64:65], s[24:25]
	v_add_f64 v[66:67], -v[66:67], 2.0
	v_fma_f64 v[80:81], -v[68:69], v[76:77], 1.0
	v_fmac_f64_e32 v[76:77], v[76:77], v[80:81]
	v_fma_f64 v[80:81], -v[68:69], v[76:77], 1.0
	v_fmac_f64_e32 v[76:77], v[76:77], v[80:81]
	v_mul_f64 v[80:81], v[78:79], v[76:77]
	v_fma_f64 v[68:69], -v[68:69], v[80:81], v[78:79]
	v_div_fmas_f64 v[68:69], v[68:69], v[76:77], v[80:81]
	v_div_fixup_f64 v[64:65], v[68:69], v[64:65], s[24:25]
	v_cmp_eq_f64_e32 vcc, 1.0, v[66:67]
	v_frexp_mant_f64_e64 v[68:69], |v[66:67]|
	v_frexp_exp_i32_f64_e32 v76, v[66:67]
	v_cndmask_b32_e32 v57, 2.0, v73, vcc
	v_cmp_gt_f64_e32 vcc, s[26:27], v[68:69]
	s_mov_b32 s36, s26
	s_mov_b32 s44, s30
	v_cndmask_b32_e64 v77, 0, 1, vcc
	v_ldexp_f64 v[68:69], v[68:69], v77
	v_subbrev_co_u32_e32 v88, vcc, 0, v76, vcc
	v_add_f64 v[76:77], v[68:69], 1.0
	v_rcp_f64_e32 v[78:79], v[76:77]
	v_add_f64 v[82:83], v[76:77], -1.0
	v_add_f64 v[80:81], v[68:69], -1.0
	v_add_f64 v[68:69], v[68:69], -v[82:83]
	v_fma_f64 v[82:83], -v[76:77], v[78:79], 1.0
	v_fmac_f64_e32 v[78:79], v[82:83], v[78:79]
	v_fma_f64 v[82:83], -v[76:77], v[78:79], 1.0
	v_fmac_f64_e32 v[78:79], v[82:83], v[78:79]
	v_mul_f64 v[82:83], v[80:81], v[78:79]
	v_mul_f64 v[84:85], v[76:77], v[82:83]
	v_fma_f64 v[76:77], v[82:83], v[76:77], -v[84:85]
	v_fmac_f64_e32 v[76:77], v[82:83], v[68:69]
	v_add_f64 v[68:69], v[84:85], v[76:77]
	v_add_f64 v[86:87], v[80:81], -v[68:69]
	v_add_f64 v[84:85], v[68:69], -v[84:85]
	;; [unrolled: 1-line block ×5, first 2 shown]
	v_add_f64 v[68:69], v[76:77], v[68:69]
	v_add_f64 v[68:69], v[86:87], v[68:69]
	v_mul_f64 v[68:69], v[78:79], v[68:69]
	v_add_f64 v[76:77], v[82:83], v[68:69]
	v_add_f64 v[78:79], v[76:77], -v[82:83]
	v_add_f64 v[68:69], v[68:69], -v[78:79]
	v_mul_f64 v[78:79], v[76:77], v[76:77]
	v_fma_f64 v[80:81], v[76:77], v[76:77], -v[78:79]
	v_add_f64 v[82:83], v[68:69], v[68:69]
	v_fmac_f64_e32 v[80:81], v[76:77], v[82:83]
	v_add_f64 v[82:83], v[78:79], v[80:81]
	v_add_f64 v[78:79], v[82:83], -v[78:79]
	v_add_f64 v[78:79], v[80:81], -v[78:79]
	v_mov_b64_e32 v[80:81], v[22:23]
	v_fmac_f64_e32 v[80:81], s[28:29], v[82:83]
	v_mov_b64_e32 v[84:85], v[24:25]
	v_fmac_f64_e32 v[84:85], v[82:83], v[80:81]
	;; [unrolled: 2-line block ×8, first 2 shown]
	v_cvt_f64_i32_e32 v[80:81], v88
	v_mul_f64 v[86:87], v[80:81], s[30:31]
	v_mul_f64 v[92:93], v[76:77], v[82:83]
	v_fma_f64 v[88:89], v[80:81], s[30:31], -v[86:87]
	v_fma_f64 v[94:95], v[82:83], v[76:77], -v[92:93]
	v_fmac_f64_e32 v[88:89], s[34:35], v[80:81]
	v_fmac_f64_e32 v[94:95], v[82:83], v[68:69]
	v_add_f64 v[80:81], v[86:87], v[88:89]
	v_fmac_f64_e32 v[94:95], v[78:79], v[76:77]
	v_add_f64 v[86:87], v[80:81], -v[86:87]
	v_ldexp_f64 v[90:91], v[68:69], 1
	v_add_f64 v[68:69], v[92:93], v[94:95]
	v_add_f64 v[86:87], v[88:89], -v[86:87]
	v_ldexp_f64 v[88:89], v[76:77], 1
	v_add_f64 v[76:77], v[68:69], -v[92:93]
	v_mul_f64 v[92:93], v[82:83], v[84:85]
	v_fma_f64 v[82:83], v[82:83], v[84:85], -v[92:93]
	v_fmac_f64_e32 v[82:83], v[78:79], v[84:85]
	v_add_f64 v[78:79], v[92:93], v[82:83]
	v_add_f64 v[84:85], v[78:79], -v[92:93]
	v_add_f64 v[82:83], v[82:83], -v[84:85]
	v_add_f64 v[84:85], v[78:79], s[26:27]
	v_add_f64 v[92:93], v[84:85], s[36:37]
	v_add_f64 v[78:79], v[78:79], -v[92:93]
	v_add_f64 v[82:83], v[82:83], s[38:39]
	v_add_f64 v[78:79], v[82:83], v[78:79]
	;; [unrolled: 1-line block ×3, first 2 shown]
	v_add_f64 v[84:85], v[84:85], -v[82:83]
	v_add_f64 v[78:79], v[78:79], v[84:85]
	v_mul_f64 v[84:85], v[68:69], v[82:83]
	v_fma_f64 v[92:93], v[68:69], v[82:83], -v[84:85]
	v_add_f64 v[76:77], v[94:95], -v[76:77]
	v_fmac_f64_e32 v[92:93], v[68:69], v[78:79]
	v_fmac_f64_e32 v[92:93], v[76:77], v[82:83]
	v_add_f64 v[68:69], v[84:85], v[92:93]
	v_add_f64 v[76:77], v[68:69], -v[84:85]
	v_add_f64 v[78:79], v[88:89], v[68:69]
	v_add_f64 v[76:77], v[92:93], -v[76:77]
	v_add_f64 v[82:83], v[78:79], -v[88:89]
	;; [unrolled: 1-line block ×3, first 2 shown]
	v_add_f64 v[76:77], v[90:91], v[76:77]
	v_add_f64 v[68:69], v[76:77], v[68:69]
	;; [unrolled: 1-line block ×3, first 2 shown]
	v_add_f64 v[78:79], v[76:77], -v[78:79]
	v_add_f64 v[68:69], v[68:69], -v[78:79]
	v_add_f64 v[78:79], v[80:81], v[76:77]
	v_add_f64 v[82:83], v[78:79], -v[80:81]
	v_add_f64 v[84:85], v[78:79], -v[82:83]
	;; [unrolled: 1-line block ×4, first 2 shown]
	v_add_f64 v[76:77], v[76:77], v[80:81]
	v_add_f64 v[80:81], v[86:87], v[68:69]
	v_add_f64 v[82:83], v[80:81], -v[86:87]
	v_add_f64 v[76:77], v[80:81], v[76:77]
	v_add_f64 v[84:85], v[80:81], -v[82:83]
	;; [unrolled: 2-line block ×3, first 2 shown]
	v_add_f64 v[68:69], v[68:69], -v[82:83]
	v_add_f64 v[78:79], v[80:81], -v[78:79]
	v_add_f64 v[68:69], v[68:69], v[84:85]
	v_add_f64 v[76:77], v[76:77], -v[78:79]
	v_add_f64 v[68:69], v[68:69], v[76:77]
	v_add_f64 v[76:77], v[80:81], v[68:69]
	v_add_f64 v[78:79], v[76:77], -v[80:81]
	v_add_f64 v[68:69], v[68:69], -v[78:79]
	v_mul_f64 v[78:79], v[56:57], v[76:77]
	v_fma_f64 v[76:77], v[56:57], v[76:77], -v[78:79]
	v_fmac_f64_e32 v[76:77], v[56:57], v[68:69]
	v_add_f64 v[68:69], v[78:79], v[76:77]
	v_cmp_class_f64_e64 vcc, v[78:79], s56
	v_add_f64 v[80:81], v[68:69], -v[78:79]
	v_add_f64 v[76:77], v[76:77], -v[80:81]
	v_cndmask_b32_e32 v69, v69, v79, vcc
	v_cndmask_b32_e32 v68, v68, v78, vcc
	v_mul_f64 v[78:79], v[68:69], s[42:43]
	v_rndne_f64_e32 v[78:79], v[78:79]
	v_fma_f64 v[80:81], s[44:45], v[78:79], v[68:69]
	s_mov_b32 s46, s34
	v_fmac_f64_e32 v[80:81], s[46:47], v[78:79]
	v_mov_b64_e32 v[82:83], v[38:39]
	v_fmac_f64_e32 v[82:83], s[48:49], v[80:81]
	v_mov_b64_e32 v[84:85], v[40:41]
	;; [unrolled: 2-line block ×9, first 2 shown]
	v_fmac_f64_e32 v[82:83], v[80:81], v[84:85]
	v_fma_f64 v[82:83], v[80:81], v[82:83], 1.0
	v_cmp_neq_f64_e64 vcc, |v[68:69]|, s[40:41]
	v_fma_f64 v[80:81], v[80:81], v[82:83], 1.0
	v_cvt_i32_f64_e32 v78, v[78:79]
	v_cndmask_b32_e32 v77, 0, v77, vcc
	v_cndmask_b32_e32 v76, 0, v76, vcc
	v_ldexp_f64 v[78:79], v[80:81], v78
	v_cmp_nlt_f64_e32 vcc, s[50:51], v[68:69]
	v_cmp_ngt_f64_e64 s[0:1], s[52:53], v[68:69]
	v_cmp_class_f64_e64 s[58:59], v[66:67], s56
	v_cndmask_b32_e32 v79, v74, v79, vcc
	s_and_b64 vcc, s[0:1], vcc
	v_cndmask_b32_e64 v69, 0, v79, s[0:1]
	v_cndmask_b32_e32 v68, 0, v78, vcc
	v_mov_b64_e32 v[78:79], v[68:69]
	v_fmac_f64_e32 v[78:79], v[78:79], v[76:77]
	v_cmp_class_f64_e64 vcc, v[68:69], s56
	v_mul_f64 v[76:77], v[56:57], 0.5
	s_nop 0
	v_cndmask_b32_e32 v80, v78, v68, vcc
	v_cndmask_b32_e32 v81, v79, v69, vcc
	v_trunc_f64_e32 v[68:69], v[56:57]
	v_trunc_f64_e32 v[78:79], v[76:77]
	v_cmp_neq_f64_e32 vcc, v[78:79], v[76:77]
	v_cmp_eq_f64_e64 s[0:1], v[68:69], v[56:57]
	s_and_b64 vcc, s[0:1], vcc
	v_cndmask_b32_e32 v68, v73, v67, vcc
	v_bfi_b32 v68, s57, v81, v68
	v_cndmask_b32_e64 v57, 0, v80, s[0:1]
	v_cndmask_b32_e64 v69, v75, v68, s[0:1]
	v_cmp_gt_f64_e64 s[0:1], 0, v[66:67]
	s_nop 1
	v_cndmask_b32_e64 v68, v68, v69, s[0:1]
	v_cndmask_b32_e64 v57, v80, v57, s[0:1]
	v_cmp_eq_f64_e64 s[0:1], 0, v[66:67]
	v_cndmask_b32_e32 v67, 0, v67, vcc
	s_or_b64 vcc, s[0:1], s[58:59]
	v_cndmask_b32_e64 v66, v74, 0, s[0:1]
	v_bfi_b32 v67, s57, v66, v67
	v_cndmask_b32_e64 v66, v57, 0, vcc
	v_cndmask_b32_e32 v67, v68, v67, vcc
	v_mul_f64 v[68:69], v[64:65], v[66:67]
.LBB0_9:                                ;   in Loop: Header=BB0_5 Depth=1
	s_or_b64 exec, exec, s[54:55]
                                        ; implicit-def: $vgpr66_vgpr67
.LBB0_10:                               ;   in Loop: Header=BB0_5 Depth=1
	s_andn2_saveexec_b64 s[0:1], s[4:5]
	s_cbranch_execz .LBB0_3
; %bb.11:                               ;   in Loop: Header=BB0_5 Depth=1
	v_mov_b32_e32 v64, 0
	v_mov_b32_e32 v65, 0x40080000
	v_fmac_f64_e32 v[64:65], 0xc0020000, v[66:67]
	v_mul_f64 v[68:69], v[20:21], v[64:65]
	s_branch .LBB0_3
.LBB0_12:
	s_load_dwordx2 s[0:1], s[12:13], 0x40
	s_load_dwordx2 s[2:3], s[12:13], 0x0
	s_mov_b32 s4, 0
	s_mov_b32 s5, 0x401c0000
	s_movk_i32 s6, 0x204
	s_waitcnt lgkmcnt(0)
	v_mov_b64_e32 v[2:3], s[0:1]
	v_mul_f64 v[2:3], s[2:3], v[2:3]
	v_mul_f64 v[2:3], s[0:1], v[2:3]
	v_div_scale_f64 v[4:5], s[0:1], s[4:5], s[4:5], v[2:3]
	v_rcp_f64_e32 v[6:7], v[4:5]
	v_div_scale_f64 v[8:9], vcc, v[2:3], s[4:5], v[2:3]
	v_fma_f64 v[10:11], -v[4:5], v[6:7], 1.0
	v_fmac_f64_e32 v[6:7], v[6:7], v[10:11]
	v_fma_f64 v[10:11], -v[4:5], v[6:7], 1.0
	v_fmac_f64_e32 v[6:7], v[6:7], v[10:11]
	v_mul_f64 v[10:11], v[8:9], v[6:7]
	v_fma_f64 v[4:5], -v[4:5], v[10:11], v[8:9]
	s_waitcnt vmcnt(0)
	v_div_scale_f64 v[8:9], s[0:1], s[2:3], s[2:3], v[0:1]
	v_rcp_f64_e32 v[12:13], v[8:9]
	v_div_fmas_f64 v[4:5], v[4:5], v[6:7], v[10:11]
	v_div_fixup_f64 v[2:3], v[4:5], s[4:5], v[2:3]
	s_mov_b32 s1, 0x3fe55555
	v_fma_f64 v[4:5], -v[8:9], v[12:13], 1.0
	v_fmac_f64_e32 v[12:13], v[12:13], v[4:5]
	v_fma_f64 v[4:5], -v[8:9], v[12:13], 1.0
	v_fmac_f64_e32 v[12:13], v[12:13], v[4:5]
	v_div_scale_f64 v[4:5], vcc, v[0:1], s[2:3], v[0:1]
	v_mul_f64 v[6:7], v[4:5], v[12:13]
	v_fma_f64 v[4:5], -v[8:9], v[6:7], v[4:5]
	v_mov_b32_e32 v8, 0x3ff00000
	s_nop 0
	v_div_fmas_f64 v[4:5], v[4:5], v[12:13], v[6:7]
	v_div_fixup_f64 v[4:5], v[4:5], s[2:3], v[0:1]
	v_mov_b32_e32 v6, 0x401c0000
	v_cmp_eq_f64_e32 vcc, 1.0, v[4:5]
	v_frexp_mant_f64_e64 v[10:11], |v[4:5]|
	s_mov_b32 s0, 0x55555555
	v_cndmask_b32_e32 v7, v6, v8, vcc
	v_cmp_gt_f64_e32 vcc, s[0:1], v[10:11]
	s_mov_b32 s2, 0x4222de17
	s_mov_b32 s3, 0x3fbdee67
	v_cndmask_b32_e64 v12, 0, 1, vcc
	v_ldexp_f64 v[10:11], v[10:11], v12
	v_add_f64 v[12:13], v[10:11], 1.0
	v_rcp_f64_e32 v[16:17], v[12:13]
	v_add_f64 v[20:21], v[12:13], -1.0
	v_add_f64 v[18:19], v[10:11], -1.0
	v_add_f64 v[10:11], v[10:11], -v[20:21]
	v_fma_f64 v[20:21], -v[12:13], v[16:17], 1.0
	v_fmac_f64_e32 v[16:17], v[20:21], v[16:17]
	v_fma_f64 v[20:21], -v[12:13], v[16:17], 1.0
	v_fmac_f64_e32 v[16:17], v[20:21], v[16:17]
	v_mul_f64 v[20:21], v[18:19], v[16:17]
	v_mul_f64 v[22:23], v[12:13], v[20:21]
	v_fma_f64 v[12:13], v[20:21], v[12:13], -v[22:23]
	v_fmac_f64_e32 v[12:13], v[20:21], v[10:11]
	v_add_f64 v[10:11], v[22:23], v[12:13]
	v_add_f64 v[24:25], v[18:19], -v[10:11]
	v_add_f64 v[22:23], v[10:11], -v[22:23]
	v_add_f64 v[18:19], v[18:19], -v[24:25]
	v_add_f64 v[10:11], v[18:19], -v[10:11]
	v_add_f64 v[12:13], v[22:23], -v[12:13]
	v_add_f64 v[10:11], v[12:13], v[10:11]
	v_add_f64 v[10:11], v[24:25], v[10:11]
	v_mul_f64 v[10:11], v[16:17], v[10:11]
	v_add_f64 v[12:13], v[20:21], v[10:11]
	v_add_f64 v[16:17], v[12:13], -v[20:21]
	v_add_f64 v[10:11], v[10:11], -v[16:17]
	v_mul_f64 v[16:17], v[12:13], v[12:13]
	v_fma_f64 v[18:19], v[12:13], v[12:13], -v[16:17]
	v_add_f64 v[20:21], v[10:11], v[10:11]
	v_fmac_f64_e32 v[18:19], v[12:13], v[20:21]
	v_add_f64 v[20:21], v[16:17], v[18:19]
	v_add_f64 v[16:17], v[20:21], -v[16:17]
	v_add_f64 v[16:17], v[18:19], -v[16:17]
	v_mov_b32_e32 v18, 0x968915a9
	v_mov_b32_e32 v19, 0x3fba6564
	v_fmac_f64_e32 v[18:19], s[2:3], v[20:21]
	v_mov_b32_e32 v22, 0x3abe935a
	v_mov_b32_e32 v23, 0x3fbe25e4
	v_fmac_f64_e32 v[22:23], v[20:21], v[18:19]
	;; [unrolled: 3-line block ×5, first 2 shown]
	v_mov_b32_e32 v22, 0x1c7792ce
	v_mov_b32_e32 v23, 0x3fcc71c7
	v_frexp_exp_i32_f64_e32 v9, v[4:5]
	v_fmac_f64_e32 v[22:23], v[20:21], v[18:19]
	v_mov_b32_e32 v18, 0x924920da
	v_mov_b32_e32 v19, 0x3fd24924
	v_subbrev_co_u32_e32 v9, vcc, 0, v9, vcc
	v_fmac_f64_e32 v[18:19], v[20:21], v[22:23]
	v_mov_b32_e32 v22, 0x9999999c
	v_mov_b32_e32 v23, 0x3fd99999
	v_fmac_f64_e32 v[22:23], v[20:21], v[18:19]
	v_cvt_f64_i32_e32 v[18:19], v9
	s_mov_b32 s3, 0x3fe62e42
	s_mov_b32 s2, 0xfefa39ef
	v_mul_f64 v[24:25], v[18:19], s[2:3]
	v_mul_f64 v[30:31], v[12:13], v[20:21]
	v_fma_f64 v[26:27], v[18:19], s[2:3], -v[24:25]
	s_mov_b32 s5, 0x3c7abc9e
	s_mov_b32 s4, 0x3b39803f
	v_fma_f64 v[32:33], v[20:21], v[12:13], -v[30:31]
	v_fmac_f64_e32 v[26:27], s[4:5], v[18:19]
	v_fmac_f64_e32 v[32:33], v[20:21], v[10:11]
	v_add_f64 v[18:19], v[24:25], v[26:27]
	v_fmac_f64_e32 v[32:33], v[16:17], v[12:13]
	v_add_f64 v[24:25], v[18:19], -v[24:25]
	v_ldexp_f64 v[28:29], v[10:11], 1
	v_add_f64 v[10:11], v[30:31], v[32:33]
	v_add_f64 v[24:25], v[26:27], -v[24:25]
	v_ldexp_f64 v[26:27], v[12:13], 1
	v_add_f64 v[12:13], v[10:11], -v[30:31]
	v_mul_f64 v[30:31], v[20:21], v[22:23]
	v_fma_f64 v[20:21], v[20:21], v[22:23], -v[30:31]
	v_fmac_f64_e32 v[20:21], v[16:17], v[22:23]
	v_add_f64 v[16:17], v[30:31], v[20:21]
	v_add_f64 v[22:23], v[16:17], -v[30:31]
	v_add_f64 v[20:21], v[20:21], -v[22:23]
	v_add_f64 v[22:23], v[16:17], s[0:1]
	s_mov_b32 s1, 0xbfe55555
	v_add_f64 v[30:31], v[22:23], s[0:1]
	s_mov_b32 s0, 0xd5df274d
	s_mov_b32 s1, 0x3c8543b0
	v_add_f64 v[16:17], v[16:17], -v[30:31]
	v_add_f64 v[20:21], v[20:21], s[0:1]
	v_add_f64 v[16:17], v[20:21], v[16:17]
	;; [unrolled: 1-line block ×3, first 2 shown]
	v_add_f64 v[22:23], v[22:23], -v[20:21]
	v_add_f64 v[16:17], v[16:17], v[22:23]
	v_mul_f64 v[22:23], v[10:11], v[20:21]
	v_fma_f64 v[30:31], v[10:11], v[20:21], -v[22:23]
	v_add_f64 v[12:13], v[32:33], -v[12:13]
	v_fmac_f64_e32 v[30:31], v[10:11], v[16:17]
	v_fmac_f64_e32 v[30:31], v[12:13], v[20:21]
	v_add_f64 v[10:11], v[22:23], v[30:31]
	v_add_f64 v[12:13], v[10:11], -v[22:23]
	v_add_f64 v[16:17], v[26:27], v[10:11]
	v_add_f64 v[12:13], v[30:31], -v[12:13]
	v_add_f64 v[20:21], v[16:17], -v[26:27]
	;; [unrolled: 1-line block ×3, first 2 shown]
	v_add_f64 v[12:13], v[28:29], v[12:13]
	v_add_f64 v[10:11], v[12:13], v[10:11]
	;; [unrolled: 1-line block ×3, first 2 shown]
	v_add_f64 v[16:17], v[12:13], -v[16:17]
	v_add_f64 v[10:11], v[10:11], -v[16:17]
	v_add_f64 v[16:17], v[18:19], v[12:13]
	v_add_f64 v[20:21], v[16:17], -v[18:19]
	v_add_f64 v[22:23], v[16:17], -v[20:21]
	;; [unrolled: 1-line block ×4, first 2 shown]
	v_add_f64 v[12:13], v[12:13], v[18:19]
	v_add_f64 v[18:19], v[24:25], v[10:11]
	v_add_f64 v[20:21], v[18:19], -v[24:25]
	v_add_f64 v[12:13], v[18:19], v[12:13]
	v_add_f64 v[22:23], v[18:19], -v[20:21]
	;; [unrolled: 2-line block ×3, first 2 shown]
	v_add_f64 v[10:11], v[10:11], -v[20:21]
	v_add_f64 v[16:17], v[18:19], -v[16:17]
	v_add_f64 v[10:11], v[10:11], v[22:23]
	v_add_f64 v[12:13], v[12:13], -v[16:17]
	v_add_f64 v[10:11], v[10:11], v[12:13]
	v_add_f64 v[12:13], v[18:19], v[10:11]
	v_mov_b32_e32 v6, 0
	v_add_f64 v[16:17], v[12:13], -v[18:19]
	v_add_f64 v[10:11], v[10:11], -v[16:17]
	v_mul_f64 v[16:17], v[6:7], v[12:13]
	v_fma_f64 v[12:13], v[6:7], v[12:13], -v[16:17]
	v_fmac_f64_e32 v[12:13], v[6:7], v[10:11]
	v_add_f64 v[10:11], v[16:17], v[12:13]
	v_cmp_class_f64_e64 vcc, v[16:17], s6
	s_mov_b32 s0, 0
	v_add_f64 v[18:19], v[10:11], -v[16:17]
	v_cndmask_b32_e32 v11, v11, v17, vcc
	v_cndmask_b32_e32 v10, v10, v16, vcc
	s_mov_b32 s1, 0x7ff00000
	v_cmp_neq_f64_e64 vcc, |v[10:11]|, s[0:1]
	s_mov_b32 s0, 0x652b82fe
	s_mov_b32 s1, 0x3ff71547
	v_mul_f64 v[16:17], v[10:11], s[0:1]
	v_rndne_f64_e32 v[16:17], v[16:17]
	s_mov_b32 s3, 0xbfe62e42
	v_add_f64 v[12:13], v[12:13], -v[18:19]
	v_fma_f64 v[18:19], s[2:3], v[16:17], v[10:11]
	s_mov_b32 s5, 0xbc7abc9e
	s_mov_b32 s0, 0x6a5dcb37
	v_fmac_f64_e32 v[18:19], s[4:5], v[16:17]
	v_mov_b32_e32 v20, 0xfca7ab0c
	v_mov_b32_e32 v21, 0x3e928af3
	s_mov_b32 s1, 0x3e5ade15
	v_fmac_f64_e32 v[20:21], s[0:1], v[18:19]
	v_mov_b32_e32 v22, 0x623fde64
	v_mov_b32_e32 v23, 0x3ec71dee
	v_fmac_f64_e32 v[22:23], v[18:19], v[20:21]
	v_mov_b32_e32 v20, 0x7c89e6b0
	v_mov_b32_e32 v21, 0x3efa0199
	;; [unrolled: 3-line block ×8, first 2 shown]
	s_mov_b32 s0, 0
	v_fmac_f64_e32 v[20:21], v[18:19], v[22:23]
	s_mov_b32 s1, 0x40900000
	v_cndmask_b32_e32 v13, 0, v13, vcc
	v_cndmask_b32_e32 v12, 0, v12, vcc
	v_fma_f64 v[20:21], v[18:19], v[20:21], 1.0
	v_cmp_nlt_f64_e32 vcc, s[0:1], v[10:11]
	s_mov_b32 s0, 0
	v_fma_f64 v[18:19], v[18:19], v[20:21], 1.0
	v_cvt_i32_f64_e32 v9, v[16:17]
	s_mov_b32 s1, 0xc090cc00
	v_ldexp_f64 v[16:17], v[18:19], v9
	v_mov_b32_e32 v9, 0x7ff00000
	v_cmp_ngt_f64_e64 s[0:1], s[0:1], v[10:11]
	v_cndmask_b32_e32 v17, v9, v17, vcc
	s_and_b64 vcc, s[0:1], vcc
	v_cndmask_b32_e64 v11, 0, v17, s[0:1]
	v_cndmask_b32_e32 v10, 0, v16, vcc
	v_mov_b64_e32 v[16:17], v[10:11]
	v_fmac_f64_e32 v[16:17], v[16:17], v[12:13]
	v_cmp_class_f64_e64 vcc, v[10:11], s6
	v_mul_f64 v[12:13], v[6:7], 0.5
	s_brev_b32 s4, -2
	v_cndmask_b32_e32 v18, v16, v10, vcc
	v_cndmask_b32_e32 v19, v17, v11, vcc
	v_trunc_f64_e32 v[10:11], v[6:7]
	v_trunc_f64_e32 v[16:17], v[12:13]
	v_cmp_neq_f64_e32 vcc, v[16:17], v[12:13]
	v_cmp_eq_f64_e64 s[0:1], v[10:11], v[6:7]
	s_and_b64 vcc, s[0:1], vcc
	v_cndmask_b32_e32 v7, v8, v5, vcc
	v_bfi_b32 v7, s4, v19, v7
	v_mov_b32_e32 v8, 0x7ff80000
	v_cndmask_b32_e64 v6, 0, v18, s[0:1]
	v_cndmask_b32_e64 v10, v8, v7, s[0:1]
	v_cmp_gt_f64_e64 s[0:1], 0, v[4:5]
	v_cmp_class_f64_e64 s[2:3], v[4:5], s6
	s_nop 0
	v_cndmask_b32_e64 v7, v7, v10, s[0:1]
	v_cndmask_b32_e64 v6, v18, v6, s[0:1]
	v_cmp_eq_f64_e64 s[0:1], 0, v[4:5]
	v_cndmask_b32_e32 v10, 0, v5, vcc
	s_or_b64 vcc, s[0:1], s[2:3]
	v_cndmask_b32_e64 v9, v9, 0, s[0:1]
	v_bfi_b32 v9, s4, v9, v10
	v_cndmask_b32_e64 v6, v6, 0, vcc
	v_cndmask_b32_e32 v7, v7, v9, vcc
	v_add_f64 v[6:7], v[6:7], -1.0
	v_cmp_o_f64_e32 vcc, v[4:5], v[4:5]
	s_nop 1
	v_cndmask_b32_e32 v5, v8, v7, vcc
	v_cndmask_b32_e32 v4, 0, v6, vcc
	v_mul_f64 v[2:3], v[2:3], v[4:5]
	global_store_dwordx4 v[14:15], v[0:3], off
.LBB0_13:
	s_endpgm
	.section	.rodata,"a",@progbits
	.p2align	6, 0x0
	.amdhsa_kernel _Z15updatePressuresP14fluid_particlePK5param
		.amdhsa_group_segment_fixed_size 0
		.amdhsa_private_segment_fixed_size 0
		.amdhsa_kernarg_size 272
		.amdhsa_user_sgpr_count 2
		.amdhsa_user_sgpr_dispatch_ptr 0
		.amdhsa_user_sgpr_queue_ptr 0
		.amdhsa_user_sgpr_kernarg_segment_ptr 1
		.amdhsa_user_sgpr_dispatch_id 0
		.amdhsa_user_sgpr_kernarg_preload_length 0
		.amdhsa_user_sgpr_kernarg_preload_offset 0
		.amdhsa_user_sgpr_private_segment_size 0
		.amdhsa_uses_dynamic_stack 0
		.amdhsa_enable_private_segment 0
		.amdhsa_system_sgpr_workgroup_id_x 1
		.amdhsa_system_sgpr_workgroup_id_y 0
		.amdhsa_system_sgpr_workgroup_id_z 0
		.amdhsa_system_sgpr_workgroup_info 0
		.amdhsa_system_vgpr_workitem_id 0
		.amdhsa_next_free_vgpr 96
		.amdhsa_next_free_sgpr 60
		.amdhsa_accum_offset 96
		.amdhsa_reserve_vcc 1
		.amdhsa_float_round_mode_32 0
		.amdhsa_float_round_mode_16_64 0
		.amdhsa_float_denorm_mode_32 3
		.amdhsa_float_denorm_mode_16_64 3
		.amdhsa_dx10_clamp 1
		.amdhsa_ieee_mode 1
		.amdhsa_fp16_overflow 0
		.amdhsa_tg_split 0
		.amdhsa_exception_fp_ieee_invalid_op 0
		.amdhsa_exception_fp_denorm_src 0
		.amdhsa_exception_fp_ieee_div_zero 0
		.amdhsa_exception_fp_ieee_overflow 0
		.amdhsa_exception_fp_ieee_underflow 0
		.amdhsa_exception_fp_ieee_inexact 0
		.amdhsa_exception_int_div_zero 0
	.end_amdhsa_kernel
	.text
.Lfunc_end0:
	.size	_Z15updatePressuresP14fluid_particlePK5param, .Lfunc_end0-_Z15updatePressuresP14fluid_particlePK5param
                                        ; -- End function
	.set _Z15updatePressuresP14fluid_particlePK5param.num_vgpr, 96
	.set _Z15updatePressuresP14fluid_particlePK5param.num_agpr, 0
	.set _Z15updatePressuresP14fluid_particlePK5param.numbered_sgpr, 60
	.set _Z15updatePressuresP14fluid_particlePK5param.num_named_barrier, 0
	.set _Z15updatePressuresP14fluid_particlePK5param.private_seg_size, 0
	.set _Z15updatePressuresP14fluid_particlePK5param.uses_vcc, 1
	.set _Z15updatePressuresP14fluid_particlePK5param.uses_flat_scratch, 0
	.set _Z15updatePressuresP14fluid_particlePK5param.has_dyn_sized_stack, 0
	.set _Z15updatePressuresP14fluid_particlePK5param.has_recursion, 0
	.set _Z15updatePressuresP14fluid_particlePK5param.has_indirect_call, 0
	.section	.AMDGPU.csdata,"",@progbits
; Kernel info:
; codeLenInByte = 4632
; TotalNumSgprs: 66
; NumVgprs: 96
; NumAgprs: 0
; TotalNumVgprs: 96
; ScratchSize: 0
; MemoryBound: 1
; FloatMode: 240
; IeeeMode: 1
; LDSByteSize: 0 bytes/workgroup (compile time only)
; SGPRBlocks: 8
; VGPRBlocks: 11
; NumSGPRsForWavesPerEU: 66
; NumVGPRsForWavesPerEU: 96
; AccumOffset: 96
; Occupancy: 5
; WaveLimiterHint : 0
; COMPUTE_PGM_RSRC2:SCRATCH_EN: 0
; COMPUTE_PGM_RSRC2:USER_SGPR: 2
; COMPUTE_PGM_RSRC2:TRAP_HANDLER: 0
; COMPUTE_PGM_RSRC2:TGID_X_EN: 1
; COMPUTE_PGM_RSRC2:TGID_Y_EN: 0
; COMPUTE_PGM_RSRC2:TGID_Z_EN: 0
; COMPUTE_PGM_RSRC2:TIDIG_COMP_CNT: 0
; COMPUTE_PGM_RSRC3_GFX90A:ACCUM_OFFSET: 23
; COMPUTE_PGM_RSRC3_GFX90A:TG_SPLIT: 0
	.text
	.protected	_Z21updateAccelerationsFPP14fluid_particlePK5param ; -- Begin function _Z21updateAccelerationsFPP14fluid_particlePK5param
	.globl	_Z21updateAccelerationsFPP14fluid_particlePK5param
	.p2align	8
	.type	_Z21updateAccelerationsFPP14fluid_particlePK5param,@function
_Z21updateAccelerationsFPP14fluid_particlePK5param: ; @_Z21updateAccelerationsFPP14fluid_particlePK5param
; %bb.0:
	s_load_dwordx2 s[20:21], s[0:1], 0x8
	s_load_dword s3, s[0:1], 0x1c
	s_waitcnt lgkmcnt(0)
	s_and_b32 s3, s3, 0xffff
	s_load_dword s33, s[20:21], 0x4c
	s_mul_i32 s2, s2, s3
	v_add_u32_e32 v86, s2, v0
	s_waitcnt lgkmcnt(0)
	v_cmp_gt_i32_e32 vcc, s33, v86
	s_and_saveexec_b64 s[2:3], vcc
	s_cbranch_execz .LBB1_34
; %bb.1:
	s_load_dwordx2 s[22:23], s[0:1], 0x0
	s_movk_i32 s0, 0x70
	s_cmp_lt_i32 s33, 1
	s_waitcnt lgkmcnt(0)
	v_mov_b64_e32 v[0:1], s[22:23]
	v_mad_i64_i32 v[20:21], s[0:1], v86, s0, v[0:1]
	s_cbranch_scc1 .LBB1_32
; %bb.2:
	global_load_dwordx4 v[4:7], v[20:21], off
	global_load_dwordx4 v[8:11], v[20:21], off offset:16
	global_load_dwordx4 v[12:15], v[20:21], off offset:48
	;; [unrolled: 1-line block ×3, first 2 shown]
	s_mov_b32 s24, 0
	s_mov_b32 s26, 0
	;; [unrolled: 1-line block ×15, first 2 shown]
	v_mov_b64_e32 v[0:1], 0
	v_mov_b32_e32 v22, 0x9999999a
	v_mov_b32_e32 v23, 0xc0239999
	s_brev_b32 s25, 8
	v_mov_b32_e32 v87, 0x260
	s_mov_b32 s27, 0xc0080000
	v_mov_b32_e32 v24, 0
	s_mov_b32 s29, 0x3fe55555
	s_mov_b32 s31, 0x3fbdee67
	s_mov_b32 s35, 0x3fe62e42
	s_mov_b32 s37, 0x3c7abc9e
	s_mov_b32 s39, 0xbfe55555
	s_mov_b32 s41, 0x3c8543b0
	s_movk_i32 s74, 0x204
	s_mov_b32 s43, 0x7ff00000
	s_mov_b32 s45, 0x3ff71547
	;; [unrolled: 1-line block ×7, first 2 shown]
	s_brev_b32 s75, -2
	s_mov_b32 s57, 0x40240000
	s_mov_b32 s59, 0xbff80000
	;; [unrolled: 1-line block ×3, first 2 shown]
	v_mov_b32_e32 v88, 0x100
	v_mov_b32_e32 v89, 0xffffff80
	v_mov_b32_e32 v26, 0x54442d18
	v_mov_b32_e32 v27, 0x400921fb
	v_mov_b32_e32 v90, 0x3ff00000
	v_mov_b32_e32 v28, 0x968915a9
	v_mov_b32_e32 v29, 0x3fba6564
	v_mov_b32_e32 v30, 0x3abe935a
	v_mov_b32_e32 v31, 0x3fbe25e4
	v_mov_b32_e32 v32, 0x47e6c9c2
	v_mov_b32_e32 v33, 0x3fc110ef
	v_mov_b32_e32 v34, 0xcfa74449
	v_mov_b32_e32 v35, 0x3fc3b13b
	v_mov_b32_e32 v36, 0x71bf3c30
	v_mov_b32_e32 v37, 0x3fc745d1
	v_mov_b32_e32 v38, 0x1c7792ce
	v_mov_b32_e32 v39, 0x3fcc71c7
	v_mov_b32_e32 v40, 0x924920da
	v_mov_b32_e32 v41, 0x3fd24924
	v_mov_b32_e32 v42, 0x9999999c
	v_mov_b32_e32 v43, 0x3fd99999
	v_mov_b32_e32 v44, 0xfca7ab0c
	v_mov_b32_e32 v45, 0x3e928af3
	v_mov_b32_e32 v46, 0x623fde64
	v_mov_b32_e32 v47, 0x3ec71dee
	v_mov_b32_e32 v48, 0x7c89e6b0
	v_mov_b32_e32 v49, 0x3efa0199
	v_mov_b32_e32 v50, 0x14761f6e
	v_mov_b32_e32 v51, 0x3f2a01a0
	v_mov_b32_e32 v52, 0x1852b7b0
	v_mov_b32_e32 v53, 0x3f56c16c
	v_mov_b32_e32 v54, 0x11122322
	v_mov_b32_e32 v55, 0x3f811111
	v_mov_b32_e32 v56, 0x555502a1
	v_mov_b32_e32 v57, 0x3fa55555
	v_mov_b32_e32 v58, 0x55555511
	v_mov_b32_e32 v59, 0x3fc55555
	v_mov_b32_e32 v91, 0x7ff00000
	s_waitcnt vmcnt(3)
	v_mul_f64 v[2:3], v[4:5], v[4:5]
	v_div_scale_f64 v[60:61], s[0:1], v[2:3], v[2:3], v[6:7]
	v_rcp_f64_e32 v[62:63], v[60:61]
	v_div_scale_f64 v[64:65], vcc, v[6:7], v[2:3], v[6:7]
	v_mov_b32_e32 v92, 0x7ff80000
	v_fma_f64 v[66:67], -v[60:61], v[62:63], 1.0
	v_fmac_f64_e32 v[62:63], v[62:63], v[66:67]
	v_fma_f64 v[66:67], -v[60:61], v[62:63], 1.0
	v_fmac_f64_e32 v[62:63], v[62:63], v[66:67]
	v_mul_f64 v[66:67], v[64:65], v[62:63]
	v_fma_f64 v[60:61], -v[60:61], v[66:67], v[64:65]
	v_div_fmas_f64 v[62:63], v[60:61], v[62:63], v[66:67]
	v_mov_b32_e32 v60, 11
	v_div_fixup_f64 v[6:7], v[62:63], v[2:3], v[6:7]
	v_mov_b32_e32 v61, 0x3fe00000
	v_mov_b32_e32 v93, 0x40080000
	v_mov_b64_e32 v[2:3], 0
	s_branch .LBB1_6
.LBB1_3:                                ;   in Loop: Header=BB1_6 Depth=1
	s_or_b64 exec, exec, s[0:1]
	v_mul_f64 v[70:71], v[68:69], v[70:71]
.LBB1_4:                                ;   in Loop: Header=BB1_6 Depth=1
	s_or_b64 exec, exec, s[2:3]
	v_mul_f64 v[68:69], s[10:11], v[70:71]
	v_fmac_f64_e32 v[78:79], v[64:65], v[68:69]
	v_fmac_f64_e32 v[76:77], v[62:63], v[68:69]
	;; [unrolled: 1-line block ×3, first 2 shown]
	v_add_f64 v[0:1], v[0:1], v[78:79]
	v_add_f64 v[2:3], v[2:3], v[76:77]
	;; [unrolled: 1-line block ×3, first 2 shown]
.LBB1_5:                                ;   in Loop: Header=BB1_6 Depth=1
	s_or_b64 exec, exec, s[62:63]
	s_add_u32 s22, s22, 0x70
	s_addc_u32 s23, s23, 0
	s_add_i32 s33, s33, -1
	s_cmp_eq_u32 s33, 0
	s_cbranch_scc1 .LBB1_33
.LBB1_6:                                ; =>This Inner Loop Header: Depth=1
	v_subrev_co_u32_e32 v86, vcc, 1, v86
	s_xor_b64 s[0:1], vcc, -1
	s_and_saveexec_b64 s[62:63], s[0:1]
	s_cbranch_execz .LBB1_5
; %bb.7:                                ;   in Loop: Header=BB1_6 Depth=1
	s_load_dwordx16 s[4:19], s[22:23], 0x0
	s_waitcnt vmcnt(2) lgkmcnt(0)
	v_add_f64 v[62:63], v[10:11], -s[10:11]
	v_add_f64 v[64:65], v[8:9], -s[8:9]
	v_mul_f64 v[70:71], v[62:63], v[62:63]
	s_waitcnt vmcnt(0)
	v_add_f64 v[66:67], v[16:17], -s[12:13]
	v_fmac_f64_e32 v[70:71], v[64:65], v[64:65]
	v_fmac_f64_e32 v[70:71], v[66:67], v[66:67]
	v_cmp_gt_f64_e32 vcc, s[24:25], v[70:71]
	s_load_dwordx2 s[12:13], s[20:21], 0x8
	s_load_dwordx2 s[64:65], s[20:21], 0x18
	s_load_dwordx4 s[8:11], s[20:21], 0x30
	s_load_dwordx2 s[66:67], s[20:21], 0x40
	v_cndmask_b32_e32 v25, 0, v88, vcc
	v_ldexp_f64 v[68:69], v[70:71], v25
	v_rsq_f64_e32 v[72:73], v[68:69]
	v_cndmask_b32_e32 v25, 0, v89, vcc
	v_cmp_class_f64_e32 vcc, v[68:69], v87
	v_mul_f64 v[74:75], v[68:69], v[72:73]
	v_mul_f64 v[72:73], v[72:73], 0.5
	v_fma_f64 v[76:77], -v[72:73], v[74:75], 0.5
	v_fmac_f64_e32 v[74:75], v[74:75], v[76:77]
	v_fma_f64 v[78:79], -v[74:75], v[74:75], v[68:69]
	v_fmac_f64_e32 v[72:73], v[72:73], v[76:77]
	v_fmac_f64_e32 v[74:75], v[78:79], v[72:73]
	v_fma_f64 v[76:77], -v[74:75], v[74:75], v[68:69]
	v_fmac_f64_e32 v[74:75], v[76:77], v[72:73]
	v_ldexp_f64 v[72:73], v[74:75], v25
	s_waitcnt lgkmcnt(0)
	v_mul_f64 v[74:75], s[64:65], v[26:27]
	v_mul_f64 v[74:75], s[64:65], v[74:75]
	;; [unrolled: 1-line block ×3, first 2 shown]
	v_div_scale_f64 v[76:77], s[0:1], v[74:75], v[74:75], 1.0
	v_rcp_f64_e32 v[78:79], v[76:77]
	v_cndmask_b32_e32 v81, v73, v69, vcc
	v_cndmask_b32_e32 v80, v72, v68, vcc
	v_fma_f64 v[68:69], -v[76:77], v[78:79], 1.0
	v_fmac_f64_e32 v[78:79], v[78:79], v[68:69]
	v_fma_f64 v[68:69], -v[76:77], v[78:79], 1.0
	v_fmac_f64_e32 v[78:79], v[78:79], v[68:69]
	v_div_scale_f64 v[68:69], vcc, 1.0, v[74:75], 1.0
	v_mul_f64 v[72:73], v[68:69], v[78:79]
	v_fma_f64 v[68:69], -v[76:77], v[72:73], v[68:69]
	v_div_scale_f64 v[76:77], s[0:1], s[64:65], s[64:65], v[80:81]
	v_rcp_f64_e32 v[82:83], v[76:77]
	v_div_fmas_f64 v[68:69], v[68:69], v[78:79], v[72:73]
	v_div_fixup_f64 v[68:69], v[68:69], v[74:75], 1.0
	v_fma_f64 v[72:73], -v[76:77], v[82:83], 1.0
	v_fmac_f64_e32 v[82:83], v[82:83], v[72:73]
	v_fma_f64 v[72:73], -v[76:77], v[82:83], 1.0
	v_fmac_f64_e32 v[82:83], v[82:83], v[72:73]
	v_div_scale_f64 v[72:73], vcc, v[80:81], s[64:65], v[80:81]
	v_mul_f64 v[74:75], v[72:73], v[82:83]
	v_fma_f64 v[72:73], -v[76:77], v[74:75], v[72:73]
	s_nop 1
	v_div_fmas_f64 v[72:73], v[72:73], v[82:83], v[74:75]
	v_div_fixup_f64 v[72:73], v[72:73], s[64:65], v[80:81]
	v_cmp_nle_f64_e64 s[0:1], 2.0, v[72:73]
	v_mov_b64_e32 v[74:75], 0
	s_and_saveexec_b64 s[68:69], s[0:1]
	s_cbranch_execz .LBB1_15
; %bb.8:                                ;   in Loop: Header=BB1_6 Depth=1
	v_cmp_ngt_f64_e32 vcc, 1.0, v[72:73]
                                        ; implicit-def: $vgpr74_vgpr75
	s_and_saveexec_b64 s[2:3], vcc
	s_xor_b64 s[70:71], exec, s[2:3]
	s_cbranch_execz .LBB1_12
; %bb.9:                                ;   in Loop: Header=BB1_6 Depth=1
	v_cmp_le_f64_e32 vcc, 1.0, v[72:73]
	v_cmp_gt_f64_e64 s[2:3], 2.0, v[72:73]
	s_and_b64 s[2:3], vcc, s[2:3]
	v_mov_b64_e32 v[74:75], 0
	s_and_saveexec_b64 s[72:73], s[2:3]
	s_cbranch_execz .LBB1_11
; %bb.10:                               ;   in Loop: Header=BB1_6 Depth=1
	v_mul_f64 v[74:75], s[64:65], 4.0
	v_mul_f64 v[74:75], v[80:81], v[74:75]
	v_div_scale_f64 v[76:77], s[2:3], v[74:75], v[74:75], s[26:27]
	v_rcp_f64_e32 v[78:79], v[76:77]
	v_div_scale_f64 v[82:83], vcc, s[26:27], v[74:75], s[26:27]
	s_mov_b32 s38, s28
	v_fma_f64 v[84:85], -v[76:77], v[78:79], 1.0
	v_fmac_f64_e32 v[78:79], v[78:79], v[84:85]
	v_fma_f64 v[84:85], -v[76:77], v[78:79], 1.0
	v_fmac_f64_e32 v[78:79], v[78:79], v[84:85]
	v_mul_f64 v[84:85], v[82:83], v[78:79]
	v_fma_f64 v[76:77], -v[76:77], v[84:85], v[82:83]
	v_div_fmas_f64 v[76:77], v[76:77], v[78:79], v[84:85]
	v_div_fixup_f64 v[74:75], v[76:77], v[74:75], s[26:27]
	v_add_f64 v[76:77], -v[72:73], 2.0
	v_cmp_eq_f64_e32 vcc, 1.0, v[76:77]
	v_frexp_mant_f64_e64 v[78:79], |v[76:77]|
	v_frexp_exp_i32_f64_e32 v82, v[76:77]
	v_cndmask_b32_e32 v25, 2.0, v90, vcc
	v_cmp_gt_f64_e32 vcc, s[28:29], v[78:79]
	s_mov_b32 s46, s34
	s_mov_b32 s48, s36
	v_cndmask_b32_e64 v83, 0, 1, vcc
	v_ldexp_f64 v[78:79], v[78:79], v83
	v_subbrev_co_u32_e32 v102, vcc, 0, v82, vcc
	v_add_f64 v[82:83], v[78:79], 1.0
	v_rcp_f64_e32 v[84:85], v[82:83]
	v_add_f64 v[96:97], v[82:83], -1.0
	v_add_f64 v[94:95], v[78:79], -1.0
	v_add_f64 v[78:79], v[78:79], -v[96:97]
	v_fma_f64 v[96:97], -v[82:83], v[84:85], 1.0
	v_fmac_f64_e32 v[84:85], v[96:97], v[84:85]
	v_fma_f64 v[96:97], -v[82:83], v[84:85], 1.0
	v_fmac_f64_e32 v[84:85], v[96:97], v[84:85]
	v_mul_f64 v[96:97], v[94:95], v[84:85]
	v_mul_f64 v[98:99], v[82:83], v[96:97]
	v_fma_f64 v[82:83], v[96:97], v[82:83], -v[98:99]
	v_fmac_f64_e32 v[82:83], v[96:97], v[78:79]
	v_add_f64 v[78:79], v[98:99], v[82:83]
	v_add_f64 v[100:101], v[94:95], -v[78:79]
	v_add_f64 v[98:99], v[78:79], -v[98:99]
	;; [unrolled: 1-line block ×5, first 2 shown]
	v_add_f64 v[78:79], v[82:83], v[78:79]
	v_add_f64 v[78:79], v[100:101], v[78:79]
	v_mul_f64 v[78:79], v[84:85], v[78:79]
	v_add_f64 v[82:83], v[96:97], v[78:79]
	v_add_f64 v[84:85], v[82:83], -v[96:97]
	v_add_f64 v[78:79], v[78:79], -v[84:85]
	v_mul_f64 v[84:85], v[82:83], v[82:83]
	v_fma_f64 v[94:95], v[82:83], v[82:83], -v[84:85]
	v_add_f64 v[96:97], v[78:79], v[78:79]
	v_fmac_f64_e32 v[94:95], v[82:83], v[96:97]
	v_add_f64 v[96:97], v[84:85], v[94:95]
	v_add_f64 v[84:85], v[96:97], -v[84:85]
	v_add_f64 v[84:85], v[94:95], -v[84:85]
	v_mov_b64_e32 v[94:95], v[28:29]
	v_fmac_f64_e32 v[94:95], s[30:31], v[96:97]
	v_mov_b64_e32 v[98:99], v[30:31]
	v_fmac_f64_e32 v[98:99], v[96:97], v[94:95]
	;; [unrolled: 2-line block ×8, first 2 shown]
	v_cvt_f64_i32_e32 v[94:95], v102
	v_mul_f64 v[100:101], v[94:95], s[34:35]
	v_mul_f64 v[106:107], v[82:83], v[96:97]
	v_fma_f64 v[102:103], v[94:95], s[34:35], -v[100:101]
	v_fma_f64 v[108:109], v[96:97], v[82:83], -v[106:107]
	v_fmac_f64_e32 v[102:103], s[36:37], v[94:95]
	v_fmac_f64_e32 v[108:109], v[96:97], v[78:79]
	v_add_f64 v[94:95], v[100:101], v[102:103]
	v_fmac_f64_e32 v[108:109], v[84:85], v[82:83]
	v_add_f64 v[100:101], v[94:95], -v[100:101]
	v_ldexp_f64 v[104:105], v[78:79], 1
	v_add_f64 v[78:79], v[106:107], v[108:109]
	v_add_f64 v[100:101], v[102:103], -v[100:101]
	v_ldexp_f64 v[102:103], v[82:83], 1
	v_add_f64 v[82:83], v[78:79], -v[106:107]
	v_mul_f64 v[106:107], v[96:97], v[98:99]
	v_fma_f64 v[96:97], v[96:97], v[98:99], -v[106:107]
	v_fmac_f64_e32 v[96:97], v[84:85], v[98:99]
	v_add_f64 v[84:85], v[106:107], v[96:97]
	v_add_f64 v[98:99], v[84:85], -v[106:107]
	v_add_f64 v[96:97], v[96:97], -v[98:99]
	v_add_f64 v[98:99], v[84:85], s[28:29]
	v_add_f64 v[106:107], v[98:99], s[38:39]
	v_add_f64 v[84:85], v[84:85], -v[106:107]
	v_add_f64 v[96:97], v[96:97], s[40:41]
	v_add_f64 v[84:85], v[96:97], v[84:85]
	;; [unrolled: 1-line block ×3, first 2 shown]
	v_add_f64 v[98:99], v[98:99], -v[96:97]
	v_add_f64 v[84:85], v[84:85], v[98:99]
	v_mul_f64 v[98:99], v[78:79], v[96:97]
	v_fma_f64 v[106:107], v[78:79], v[96:97], -v[98:99]
	v_add_f64 v[82:83], v[108:109], -v[82:83]
	v_fmac_f64_e32 v[106:107], v[78:79], v[84:85]
	v_fmac_f64_e32 v[106:107], v[82:83], v[96:97]
	v_add_f64 v[78:79], v[98:99], v[106:107]
	v_add_f64 v[82:83], v[78:79], -v[98:99]
	v_add_f64 v[84:85], v[102:103], v[78:79]
	v_add_f64 v[82:83], v[106:107], -v[82:83]
	v_add_f64 v[96:97], v[84:85], -v[102:103]
	;; [unrolled: 1-line block ×3, first 2 shown]
	v_add_f64 v[82:83], v[104:105], v[82:83]
	v_add_f64 v[78:79], v[82:83], v[78:79]
	;; [unrolled: 1-line block ×3, first 2 shown]
	v_add_f64 v[84:85], v[82:83], -v[84:85]
	v_add_f64 v[78:79], v[78:79], -v[84:85]
	v_add_f64 v[84:85], v[94:95], v[82:83]
	v_add_f64 v[96:97], v[84:85], -v[94:95]
	v_add_f64 v[98:99], v[84:85], -v[96:97]
	;; [unrolled: 1-line block ×4, first 2 shown]
	v_add_f64 v[82:83], v[82:83], v[94:95]
	v_add_f64 v[94:95], v[100:101], v[78:79]
	v_add_f64 v[96:97], v[94:95], -v[100:101]
	v_add_f64 v[82:83], v[94:95], v[82:83]
	v_add_f64 v[98:99], v[94:95], -v[96:97]
	;; [unrolled: 2-line block ×3, first 2 shown]
	v_add_f64 v[78:79], v[78:79], -v[96:97]
	v_add_f64 v[84:85], v[94:95], -v[84:85]
	v_add_f64 v[78:79], v[78:79], v[98:99]
	v_add_f64 v[82:83], v[82:83], -v[84:85]
	v_add_f64 v[78:79], v[78:79], v[82:83]
	v_add_f64 v[82:83], v[94:95], v[78:79]
	v_add_f64 v[84:85], v[82:83], -v[94:95]
	v_add_f64 v[78:79], v[78:79], -v[84:85]
	v_mul_f64 v[84:85], v[24:25], v[82:83]
	v_fma_f64 v[82:83], v[24:25], v[82:83], -v[84:85]
	v_fmac_f64_e32 v[82:83], v[24:25], v[78:79]
	v_add_f64 v[78:79], v[84:85], v[82:83]
	v_cmp_class_f64_e64 vcc, v[84:85], s74
	v_add_f64 v[94:95], v[78:79], -v[84:85]
	v_add_f64 v[82:83], v[82:83], -v[94:95]
	v_cndmask_b32_e32 v79, v79, v85, vcc
	v_cndmask_b32_e32 v78, v78, v84, vcc
	v_mul_f64 v[84:85], v[78:79], s[44:45]
	v_rndne_f64_e32 v[84:85], v[84:85]
	v_fma_f64 v[94:95], s[46:47], v[84:85], v[78:79]
	v_fmac_f64_e32 v[94:95], s[48:49], v[84:85]
	v_mov_b64_e32 v[96:97], v[44:45]
	v_fmac_f64_e32 v[96:97], s[50:51], v[94:95]
	v_mov_b64_e32 v[98:99], v[46:47]
	v_fmac_f64_e32 v[98:99], v[94:95], v[96:97]
	v_mov_b64_e32 v[96:97], v[48:49]
	v_fmac_f64_e32 v[96:97], v[94:95], v[98:99]
	v_mov_b64_e32 v[98:99], v[50:51]
	v_fmac_f64_e32 v[98:99], v[94:95], v[96:97]
	v_mov_b64_e32 v[96:97], v[52:53]
	v_fmac_f64_e32 v[96:97], v[94:95], v[98:99]
	v_mov_b64_e32 v[98:99], v[54:55]
	v_fmac_f64_e32 v[98:99], v[94:95], v[96:97]
	v_mov_b64_e32 v[96:97], v[56:57]
	v_fmac_f64_e32 v[96:97], v[94:95], v[98:99]
	v_mov_b64_e32 v[98:99], v[58:59]
	v_fmac_f64_e32 v[98:99], v[94:95], v[96:97]
	v_mov_b64_e32 v[96:97], v[60:61]
	v_fmac_f64_e32 v[96:97], v[94:95], v[98:99]
	v_fma_f64 v[96:97], v[94:95], v[96:97], 1.0
	v_cmp_neq_f64_e64 vcc, |v[78:79]|, s[42:43]
	v_fma_f64 v[94:95], v[94:95], v[96:97], 1.0
	v_cvt_i32_f64_e32 v84, v[84:85]
	v_cndmask_b32_e32 v83, 0, v83, vcc
	v_cndmask_b32_e32 v82, 0, v82, vcc
	v_ldexp_f64 v[84:85], v[94:95], v84
	v_cmp_nlt_f64_e32 vcc, s[52:53], v[78:79]
	v_cmp_ngt_f64_e64 s[2:3], s[54:55], v[78:79]
	v_cmp_class_f64_e64 s[76:77], v[76:77], s74
	v_cndmask_b32_e32 v85, v91, v85, vcc
	s_and_b64 vcc, s[2:3], vcc
	v_cndmask_b32_e64 v79, 0, v85, s[2:3]
	v_cndmask_b32_e32 v78, 0, v84, vcc
	v_mov_b64_e32 v[84:85], v[78:79]
	v_fmac_f64_e32 v[84:85], v[84:85], v[82:83]
	v_cmp_class_f64_e64 vcc, v[78:79], s74
	v_mul_f64 v[82:83], v[24:25], 0.5
	s_nop 0
	v_cndmask_b32_e32 v94, v84, v78, vcc
	v_cndmask_b32_e32 v95, v85, v79, vcc
	v_trunc_f64_e32 v[78:79], v[24:25]
	v_trunc_f64_e32 v[84:85], v[82:83]
	v_cmp_neq_f64_e32 vcc, v[84:85], v[82:83]
	v_cmp_eq_f64_e64 s[2:3], v[78:79], v[24:25]
	s_and_b64 vcc, s[2:3], vcc
	v_cndmask_b32_e32 v78, v90, v77, vcc
	v_bfi_b32 v78, s75, v95, v78
	v_cndmask_b32_e64 v25, 0, v94, s[2:3]
	v_cndmask_b32_e64 v79, v92, v78, s[2:3]
	v_cmp_gt_f64_e64 s[2:3], 0, v[76:77]
	s_nop 1
	v_cndmask_b32_e64 v78, v78, v79, s[2:3]
	v_cndmask_b32_e64 v25, v94, v25, s[2:3]
	v_cmp_eq_f64_e64 s[2:3], 0, v[76:77]
	v_cndmask_b32_e32 v77, 0, v77, vcc
	s_or_b64 vcc, s[2:3], s[76:77]
	v_cndmask_b32_e64 v76, v91, 0, s[2:3]
	v_bfi_b32 v77, s75, v76, v77
	v_cndmask_b32_e64 v76, v25, 0, vcc
	v_cndmask_b32_e32 v77, v78, v77, vcc
	v_mul_f64 v[74:75], v[74:75], v[76:77]
.LBB1_11:                               ;   in Loop: Header=BB1_6 Depth=1
	s_or_b64 exec, exec, s[72:73]
.LBB1_12:                               ;   in Loop: Header=BB1_6 Depth=1
	s_andn2_saveexec_b64 s[2:3], s[70:71]
	s_cbranch_execz .LBB1_14
; %bb.13:                               ;   in Loop: Header=BB1_6 Depth=1
	v_mul_f64 v[74:75], s[64:65], s[64:65]
	v_div_scale_f64 v[76:77], s[70:71], v[74:75], v[74:75], -1.0
	v_rcp_f64_e32 v[78:79], v[76:77]
	v_div_scale_f64 v[82:83], vcc, -1.0, v[74:75], -1.0
	v_fma_f64 v[84:85], -v[76:77], v[78:79], 1.0
	v_fmac_f64_e32 v[78:79], v[78:79], v[84:85]
	v_fma_f64 v[84:85], -v[76:77], v[78:79], 1.0
	v_fmac_f64_e32 v[78:79], v[78:79], v[84:85]
	v_mul_f64 v[84:85], v[82:83], v[78:79]
	v_fma_f64 v[76:77], -v[76:77], v[84:85], v[82:83]
	v_div_fmas_f64 v[76:77], v[76:77], v[78:79], v[84:85]
	v_div_fixup_f64 v[74:75], v[76:77], v[74:75], -1.0
	v_mov_b32_e32 v76, 0
	v_mov_b32_e32 v77, 0x40080000
	v_fmac_f64_e32 v[76:77], 0xc0020000, v[72:73]
	v_mul_f64 v[74:75], v[74:75], v[76:77]
.LBB1_14:                               ;   in Loop: Header=BB1_6 Depth=1
	s_or_b64 exec, exec, s[2:3]
	v_mul_f64 v[74:75], v[68:69], v[74:75]
.LBB1_15:                               ;   in Loop: Header=BB1_6 Depth=1
	s_or_b64 exec, exec, s[68:69]
	v_mul_f64 v[76:77], s[4:5], s[4:5]
	v_div_scale_f64 v[78:79], s[2:3], v[76:77], v[76:77], s[6:7]
	v_rcp_f64_e32 v[82:83], v[78:79]
	v_div_scale_f64 v[84:85], vcc, s[6:7], v[76:77], s[6:7]
	v_fma_f64 v[94:95], -v[78:79], v[82:83], 1.0
	v_fmac_f64_e32 v[82:83], v[82:83], v[94:95]
	v_fma_f64 v[94:95], -v[78:79], v[82:83], 1.0
	v_fmac_f64_e32 v[82:83], v[82:83], v[94:95]
	v_mul_f64 v[94:95], v[84:85], v[82:83]
	v_fma_f64 v[78:79], -v[78:79], v[94:95], v[84:85]
	v_div_fmas_f64 v[78:79], v[78:79], v[82:83], v[94:95]
	v_div_fixup_f64 v[76:77], v[78:79], v[76:77], s[6:7]
	v_add_f64 v[82:83], v[12:13], -s[16:17]
	v_add_f64 v[76:77], v[6:7], v[76:77]
	v_add_f64 v[84:85], v[18:19], -s[14:15]
	v_mul_f64 v[82:83], v[62:63], v[82:83]
	v_mul_f64 v[76:77], v[76:77], s[12:13]
	v_fmac_f64_e32 v[82:83], v[64:65], v[84:85]
	v_add_f64 v[84:85], v[14:15], -s[18:19]
	v_mul_f64 v[74:75], v[76:77], -v[74:75]
	v_fmac_f64_e32 v[82:83], v[66:67], v[84:85]
	v_mul_f64 v[78:79], v[64:65], v[74:75]
	v_mul_f64 v[76:77], v[62:63], v[74:75]
	;; [unrolled: 1-line block ×3, first 2 shown]
	v_cmp_gt_f64_e32 vcc, 0, v[82:83]
	s_and_saveexec_b64 s[6:7], vcc
	s_cbranch_execz .LBB1_25
; %bb.16:                               ;   in Loop: Header=BB1_6 Depth=1
	v_mov_b64_e32 v[84:85], 0
	s_and_saveexec_b64 s[14:15], s[0:1]
	s_cbranch_execz .LBB1_24
; %bb.17:                               ;   in Loop: Header=BB1_6 Depth=1
	v_cmp_ngt_f64_e32 vcc, 1.0, v[72:73]
                                        ; implicit-def: $vgpr84_vgpr85
	s_and_saveexec_b64 s[2:3], vcc
	s_xor_b64 s[16:17], exec, s[2:3]
	s_cbranch_execz .LBB1_21
; %bb.18:                               ;   in Loop: Header=BB1_6 Depth=1
	v_cmp_le_f64_e32 vcc, 1.0, v[72:73]
	v_cmp_gt_f64_e64 s[2:3], 2.0, v[72:73]
	s_and_b64 s[2:3], vcc, s[2:3]
	v_mov_b64_e32 v[84:85], 0
	s_and_saveexec_b64 s[18:19], s[2:3]
	s_cbranch_execz .LBB1_20
; %bb.19:                               ;   in Loop: Header=BB1_6 Depth=1
	v_mul_f64 v[84:85], s[64:65], 4.0
	v_mul_f64 v[80:81], v[80:81], v[84:85]
	v_div_scale_f64 v[84:85], s[2:3], v[80:81], v[80:81], s[26:27]
	v_rcp_f64_e32 v[94:95], v[84:85]
	v_div_scale_f64 v[96:97], vcc, s[26:27], v[80:81], s[26:27]
	s_mov_b32 s38, s28
	v_fma_f64 v[98:99], -v[84:85], v[94:95], 1.0
	v_fmac_f64_e32 v[94:95], v[94:95], v[98:99]
	v_fma_f64 v[98:99], -v[84:85], v[94:95], 1.0
	v_fmac_f64_e32 v[94:95], v[94:95], v[98:99]
	v_mul_f64 v[98:99], v[96:97], v[94:95]
	v_fma_f64 v[84:85], -v[84:85], v[98:99], v[96:97]
	v_div_fmas_f64 v[84:85], v[84:85], v[94:95], v[98:99]
	v_div_fixup_f64 v[80:81], v[84:85], v[80:81], s[26:27]
	v_add_f64 v[84:85], -v[72:73], 2.0
	v_cmp_eq_f64_e32 vcc, 1.0, v[84:85]
	v_frexp_mant_f64_e64 v[94:95], |v[84:85]|
	v_frexp_exp_i32_f64_e32 v96, v[84:85]
	v_cndmask_b32_e32 v25, 2.0, v90, vcc
	v_cmp_gt_f64_e32 vcc, s[28:29], v[94:95]
	s_mov_b32 s46, s34
	s_mov_b32 s48, s36
	v_cndmask_b32_e64 v97, 0, 1, vcc
	v_ldexp_f64 v[94:95], v[94:95], v97
	v_subbrev_co_u32_e32 v108, vcc, 0, v96, vcc
	v_add_f64 v[96:97], v[94:95], 1.0
	v_rcp_f64_e32 v[98:99], v[96:97]
	v_add_f64 v[102:103], v[96:97], -1.0
	v_add_f64 v[100:101], v[94:95], -1.0
	v_add_f64 v[94:95], v[94:95], -v[102:103]
	v_fma_f64 v[102:103], -v[96:97], v[98:99], 1.0
	v_fmac_f64_e32 v[98:99], v[102:103], v[98:99]
	v_fma_f64 v[102:103], -v[96:97], v[98:99], 1.0
	v_fmac_f64_e32 v[98:99], v[102:103], v[98:99]
	v_mul_f64 v[102:103], v[100:101], v[98:99]
	v_mul_f64 v[104:105], v[96:97], v[102:103]
	v_fma_f64 v[96:97], v[102:103], v[96:97], -v[104:105]
	v_fmac_f64_e32 v[96:97], v[102:103], v[94:95]
	v_add_f64 v[94:95], v[104:105], v[96:97]
	v_add_f64 v[106:107], v[100:101], -v[94:95]
	v_add_f64 v[104:105], v[94:95], -v[104:105]
	;; [unrolled: 1-line block ×5, first 2 shown]
	v_add_f64 v[94:95], v[96:97], v[94:95]
	v_add_f64 v[94:95], v[106:107], v[94:95]
	v_mul_f64 v[94:95], v[98:99], v[94:95]
	v_add_f64 v[96:97], v[102:103], v[94:95]
	v_add_f64 v[98:99], v[96:97], -v[102:103]
	v_add_f64 v[94:95], v[94:95], -v[98:99]
	v_mul_f64 v[98:99], v[96:97], v[96:97]
	v_fma_f64 v[100:101], v[96:97], v[96:97], -v[98:99]
	v_add_f64 v[102:103], v[94:95], v[94:95]
	v_fmac_f64_e32 v[100:101], v[96:97], v[102:103]
	v_add_f64 v[102:103], v[98:99], v[100:101]
	v_add_f64 v[98:99], v[102:103], -v[98:99]
	v_add_f64 v[98:99], v[100:101], -v[98:99]
	v_mov_b64_e32 v[100:101], v[28:29]
	v_fmac_f64_e32 v[100:101], s[30:31], v[102:103]
	v_mov_b64_e32 v[104:105], v[30:31]
	v_fmac_f64_e32 v[104:105], v[102:103], v[100:101]
	;; [unrolled: 2-line block ×8, first 2 shown]
	v_cvt_f64_i32_e32 v[100:101], v108
	v_mul_f64 v[106:107], v[100:101], s[34:35]
	v_mul_f64 v[112:113], v[96:97], v[102:103]
	v_fma_f64 v[108:109], v[100:101], s[34:35], -v[106:107]
	v_fma_f64 v[114:115], v[102:103], v[96:97], -v[112:113]
	v_fmac_f64_e32 v[108:109], s[36:37], v[100:101]
	v_fmac_f64_e32 v[114:115], v[102:103], v[94:95]
	v_add_f64 v[100:101], v[106:107], v[108:109]
	v_fmac_f64_e32 v[114:115], v[98:99], v[96:97]
	v_add_f64 v[106:107], v[100:101], -v[106:107]
	v_ldexp_f64 v[110:111], v[94:95], 1
	v_add_f64 v[94:95], v[112:113], v[114:115]
	v_add_f64 v[106:107], v[108:109], -v[106:107]
	v_ldexp_f64 v[108:109], v[96:97], 1
	v_add_f64 v[96:97], v[94:95], -v[112:113]
	v_mul_f64 v[112:113], v[102:103], v[104:105]
	v_fma_f64 v[102:103], v[102:103], v[104:105], -v[112:113]
	v_fmac_f64_e32 v[102:103], v[98:99], v[104:105]
	v_add_f64 v[98:99], v[112:113], v[102:103]
	v_add_f64 v[104:105], v[98:99], -v[112:113]
	v_add_f64 v[102:103], v[102:103], -v[104:105]
	v_add_f64 v[104:105], v[98:99], s[28:29]
	v_add_f64 v[112:113], v[104:105], s[38:39]
	v_add_f64 v[98:99], v[98:99], -v[112:113]
	v_add_f64 v[102:103], v[102:103], s[40:41]
	v_add_f64 v[98:99], v[102:103], v[98:99]
	;; [unrolled: 1-line block ×3, first 2 shown]
	v_add_f64 v[104:105], v[104:105], -v[102:103]
	v_add_f64 v[98:99], v[98:99], v[104:105]
	v_mul_f64 v[104:105], v[94:95], v[102:103]
	v_fma_f64 v[112:113], v[94:95], v[102:103], -v[104:105]
	v_add_f64 v[96:97], v[114:115], -v[96:97]
	v_fmac_f64_e32 v[112:113], v[94:95], v[98:99]
	v_fmac_f64_e32 v[112:113], v[96:97], v[102:103]
	v_add_f64 v[94:95], v[104:105], v[112:113]
	v_add_f64 v[96:97], v[94:95], -v[104:105]
	v_add_f64 v[98:99], v[108:109], v[94:95]
	v_add_f64 v[96:97], v[112:113], -v[96:97]
	v_add_f64 v[102:103], v[98:99], -v[108:109]
	;; [unrolled: 1-line block ×3, first 2 shown]
	v_add_f64 v[96:97], v[110:111], v[96:97]
	v_add_f64 v[94:95], v[96:97], v[94:95]
	;; [unrolled: 1-line block ×3, first 2 shown]
	v_add_f64 v[98:99], v[96:97], -v[98:99]
	v_add_f64 v[94:95], v[94:95], -v[98:99]
	v_add_f64 v[98:99], v[100:101], v[96:97]
	v_add_f64 v[102:103], v[98:99], -v[100:101]
	v_add_f64 v[104:105], v[98:99], -v[102:103]
	;; [unrolled: 1-line block ×4, first 2 shown]
	v_add_f64 v[96:97], v[96:97], v[100:101]
	v_add_f64 v[100:101], v[106:107], v[94:95]
	v_add_f64 v[102:103], v[100:101], -v[106:107]
	v_add_f64 v[96:97], v[100:101], v[96:97]
	v_add_f64 v[104:105], v[100:101], -v[102:103]
	;; [unrolled: 2-line block ×3, first 2 shown]
	v_add_f64 v[94:95], v[94:95], -v[102:103]
	v_add_f64 v[98:99], v[100:101], -v[98:99]
	v_add_f64 v[94:95], v[94:95], v[104:105]
	v_add_f64 v[96:97], v[96:97], -v[98:99]
	v_add_f64 v[94:95], v[94:95], v[96:97]
	v_add_f64 v[96:97], v[100:101], v[94:95]
	v_add_f64 v[98:99], v[96:97], -v[100:101]
	v_add_f64 v[94:95], v[94:95], -v[98:99]
	v_mul_f64 v[98:99], v[24:25], v[96:97]
	v_fma_f64 v[96:97], v[24:25], v[96:97], -v[98:99]
	v_fmac_f64_e32 v[96:97], v[24:25], v[94:95]
	v_add_f64 v[94:95], v[98:99], v[96:97]
	v_cmp_class_f64_e64 vcc, v[98:99], s74
	v_add_f64 v[100:101], v[94:95], -v[98:99]
	v_add_f64 v[96:97], v[96:97], -v[100:101]
	v_cndmask_b32_e32 v95, v95, v99, vcc
	v_cndmask_b32_e32 v94, v94, v98, vcc
	v_mul_f64 v[98:99], v[94:95], s[44:45]
	v_rndne_f64_e32 v[98:99], v[98:99]
	v_fma_f64 v[100:101], s[46:47], v[98:99], v[94:95]
	v_fmac_f64_e32 v[100:101], s[48:49], v[98:99]
	v_mov_b64_e32 v[102:103], v[44:45]
	v_fmac_f64_e32 v[102:103], s[50:51], v[100:101]
	v_mov_b64_e32 v[104:105], v[46:47]
	;; [unrolled: 2-line block ×9, first 2 shown]
	v_fmac_f64_e32 v[102:103], v[100:101], v[104:105]
	v_fma_f64 v[102:103], v[100:101], v[102:103], 1.0
	v_cmp_neq_f64_e64 vcc, |v[94:95]|, s[42:43]
	v_fma_f64 v[100:101], v[100:101], v[102:103], 1.0
	v_cvt_i32_f64_e32 v98, v[98:99]
	v_cndmask_b32_e32 v97, 0, v97, vcc
	v_cndmask_b32_e32 v96, 0, v96, vcc
	v_ldexp_f64 v[98:99], v[100:101], v98
	v_cmp_nlt_f64_e32 vcc, s[52:53], v[94:95]
	v_cmp_ngt_f64_e64 s[2:3], s[54:55], v[94:95]
	v_cmp_class_f64_e64 s[68:69], v[84:85], s74
	v_cndmask_b32_e32 v99, v91, v99, vcc
	s_and_b64 vcc, s[2:3], vcc
	v_cndmask_b32_e64 v95, 0, v99, s[2:3]
	v_cndmask_b32_e32 v94, 0, v98, vcc
	v_mov_b64_e32 v[98:99], v[94:95]
	v_fmac_f64_e32 v[98:99], v[98:99], v[96:97]
	v_cmp_class_f64_e64 vcc, v[94:95], s74
	v_mul_f64 v[96:97], v[24:25], 0.5
	s_nop 0
	v_cndmask_b32_e32 v100, v98, v94, vcc
	v_cndmask_b32_e32 v101, v99, v95, vcc
	v_trunc_f64_e32 v[94:95], v[24:25]
	v_trunc_f64_e32 v[98:99], v[96:97]
	v_cmp_neq_f64_e32 vcc, v[98:99], v[96:97]
	v_cmp_eq_f64_e64 s[2:3], v[94:95], v[24:25]
	s_and_b64 vcc, s[2:3], vcc
	v_cndmask_b32_e32 v94, v90, v85, vcc
	v_bfi_b32 v94, s75, v101, v94
	v_cndmask_b32_e64 v25, 0, v100, s[2:3]
	v_cndmask_b32_e64 v95, v92, v94, s[2:3]
	v_cmp_gt_f64_e64 s[2:3], 0, v[84:85]
	s_nop 1
	v_cndmask_b32_e64 v94, v94, v95, s[2:3]
	v_cndmask_b32_e64 v25, v100, v25, s[2:3]
	v_cmp_eq_f64_e64 s[2:3], 0, v[84:85]
	v_cndmask_b32_e32 v85, 0, v85, vcc
	s_or_b64 vcc, s[2:3], s[68:69]
	v_cndmask_b32_e64 v84, v91, 0, s[2:3]
	v_bfi_b32 v85, s75, v84, v85
	v_cndmask_b32_e64 v84, v25, 0, vcc
	v_cndmask_b32_e32 v85, v94, v85, vcc
	v_mul_f64 v[84:85], v[80:81], v[84:85]
.LBB1_20:                               ;   in Loop: Header=BB1_6 Depth=1
	s_or_b64 exec, exec, s[18:19]
.LBB1_21:                               ;   in Loop: Header=BB1_6 Depth=1
	s_andn2_saveexec_b64 s[2:3], s[16:17]
	s_cbranch_execz .LBB1_23
; %bb.22:                               ;   in Loop: Header=BB1_6 Depth=1
	v_mul_f64 v[80:81], s[64:65], s[64:65]
	v_div_scale_f64 v[84:85], s[16:17], v[80:81], v[80:81], -1.0
	v_rcp_f64_e32 v[94:95], v[84:85]
	v_div_scale_f64 v[96:97], vcc, -1.0, v[80:81], -1.0
	v_fma_f64 v[98:99], -v[84:85], v[94:95], 1.0
	v_fmac_f64_e32 v[94:95], v[94:95], v[98:99]
	v_fma_f64 v[98:99], -v[84:85], v[94:95], 1.0
	v_fmac_f64_e32 v[94:95], v[94:95], v[98:99]
	v_mul_f64 v[98:99], v[96:97], v[94:95]
	v_fma_f64 v[84:85], -v[84:85], v[98:99], v[96:97]
	v_div_fmas_f64 v[84:85], v[84:85], v[94:95], v[98:99]
	v_div_fixup_f64 v[80:81], v[84:85], v[80:81], -1.0
	v_mov_b32_e32 v84, 0
	v_mov_b32_e32 v85, 0x40080000
	v_fmac_f64_e32 v[84:85], 0xc0020000, v[72:73]
	v_mul_f64 v[84:85], v[80:81], v[84:85]
.LBB1_23:                               ;   in Loop: Header=BB1_6 Depth=1
	s_or_b64 exec, exec, s[2:3]
	v_mul_f64 v[84:85], v[68:69], v[84:85]
.LBB1_24:                               ;   in Loop: Header=BB1_6 Depth=1
	s_or_b64 exec, exec, s[14:15]
	v_add_f64 v[80:81], s[8:9], s[8:9]
	v_mul_f64 v[80:81], s[64:65], v[80:81]
	v_mul_f64 v[80:81], s[66:67], v[80:81]
	v_add_f64 v[94:95], v[4:5], s[4:5]
	v_div_scale_f64 v[96:97], s[2:3], v[94:95], v[94:95], v[80:81]
	v_rcp_f64_e32 v[98:99], v[96:97]
	s_nop 0
	v_fma_f64 v[100:101], -v[96:97], v[98:99], 1.0
	v_fmac_f64_e32 v[98:99], v[98:99], v[100:101]
	v_fma_f64 v[100:101], -v[96:97], v[98:99], 1.0
	v_fmac_f64_e32 v[98:99], v[98:99], v[100:101]
	v_div_scale_f64 v[100:101], vcc, v[80:81], v[94:95], v[80:81]
	v_mul_f64 v[102:103], v[100:101], v[98:99]
	v_fma_f64 v[96:97], -v[96:97], v[102:103], v[100:101]
	v_mov_b64_e32 v[100:101], s[64:65]
	v_div_scale_f64 v[104:105], s[2:3], s[56:57], s[56:57], v[100:101]
	v_rcp_f64_e32 v[106:107], v[104:105]
	v_div_fmas_f64 v[96:97], v[96:97], v[98:99], v[102:103]
	v_div_fixup_f64 v[80:81], v[96:97], v[94:95], v[80:81]
	v_mul_f64 v[80:81], v[82:83], v[80:81]
	v_fma_f64 v[94:95], -v[104:105], v[106:107], 1.0
	v_fmac_f64_e32 v[106:107], v[106:107], v[94:95]
	v_fma_f64 v[94:95], -v[104:105], v[106:107], 1.0
	v_fmac_f64_e32 v[106:107], v[106:107], v[94:95]
	v_mov_b64_e32 v[94:95], s[56:57]
	v_div_scale_f64 v[94:95], vcc, s[64:65], v[94:95], s[64:65]
	v_mul_f64 v[96:97], v[94:95], v[106:107]
	v_fma_f64 v[94:95], -v[104:105], v[96:97], v[94:95]
	s_nop 1
	v_div_fmas_f64 v[94:95], v[94:95], v[106:107], v[96:97]
	v_div_fixup_f64 v[94:95], v[94:95], s[56:57], v[100:101]
	v_mul_f64 v[82:83], s[64:65], v[94:95]
	v_fmac_f64_e32 v[70:71], s[64:65], v[82:83]
	v_div_scale_f64 v[82:83], s[2:3], v[70:71], v[70:71], v[80:81]
	v_rcp_f64_e32 v[94:95], v[82:83]
	s_nop 0
	v_fma_f64 v[96:97], -v[82:83], v[94:95], 1.0
	v_fmac_f64_e32 v[94:95], v[94:95], v[96:97]
	v_fma_f64 v[96:97], -v[82:83], v[94:95], 1.0
	v_fmac_f64_e32 v[94:95], v[94:95], v[96:97]
	v_div_scale_f64 v[96:97], vcc, v[80:81], v[70:71], v[80:81]
	v_mul_f64 v[98:99], v[96:97], v[94:95]
	v_fma_f64 v[82:83], -v[82:83], v[98:99], v[96:97]
	s_nop 1
	v_div_fmas_f64 v[82:83], v[82:83], v[94:95], v[98:99]
	v_div_fixup_f64 v[70:71], v[82:83], v[70:71], v[80:81]
	v_mul_f64 v[70:71], s[12:13], v[70:71]
	v_mul_f64 v[70:71], v[70:71], v[84:85]
	v_fmac_f64_e32 v[78:79], v[64:65], v[70:71]
	v_fmac_f64_e32 v[76:77], v[62:63], v[70:71]
	v_fmac_f64_e32 v[74:75], v[66:67], v[70:71]
.LBB1_25:                               ;   in Loop: Header=BB1_6 Depth=1
	s_or_b64 exec, exec, s[6:7]
	v_mov_b64_e32 v[70:71], 0
	s_and_saveexec_b64 s[2:3], s[0:1]
	s_cbranch_execz .LBB1_4
; %bb.26:                               ;   in Loop: Header=BB1_6 Depth=1
	v_cmp_ngt_f64_e32 vcc, 1.0, v[72:73]
                                        ; implicit-def: $vgpr70_vgpr71
	s_and_saveexec_b64 s[0:1], vcc
	s_xor_b64 s[4:5], exec, s[0:1]
	s_cbranch_execz .LBB1_30
; %bb.27:                               ;   in Loop: Header=BB1_6 Depth=1
	v_cmp_le_f64_e32 vcc, 1.0, v[72:73]
	v_cmp_gt_f64_e64 s[0:1], 2.0, v[72:73]
	s_and_b64 s[0:1], vcc, s[0:1]
	v_mov_b64_e32 v[70:71], 0
	s_and_saveexec_b64 s[6:7], s[0:1]
	s_cbranch_execz .LBB1_29
; %bb.28:                               ;   in Loop: Header=BB1_6 Depth=1
	v_add_f64 v[70:71], -v[72:73], 2.0
	v_cmp_eq_f64_e32 vcc, 1.0, v[70:71]
	v_frexp_mant_f64_e64 v[72:73], |v[70:71]|
	v_frexp_exp_i32_f64_e32 v80, v[70:71]
	v_cndmask_b32_e32 v25, v93, v90, vcc
	v_cmp_gt_f64_e32 vcc, s[28:29], v[72:73]
	s_mov_b32 s38, s28
	s_mov_b32 s46, s34
	v_cndmask_b32_e64 v81, 0, 1, vcc
	v_ldexp_f64 v[72:73], v[72:73], v81
	v_subbrev_co_u32_e32 v100, vcc, 0, v80, vcc
	v_add_f64 v[80:81], v[72:73], 1.0
	v_rcp_f64_e32 v[82:83], v[80:81]
	v_add_f64 v[94:95], v[80:81], -1.0
	v_add_f64 v[84:85], v[72:73], -1.0
	v_add_f64 v[72:73], v[72:73], -v[94:95]
	v_fma_f64 v[94:95], -v[80:81], v[82:83], 1.0
	v_fmac_f64_e32 v[82:83], v[94:95], v[82:83]
	v_fma_f64 v[94:95], -v[80:81], v[82:83], 1.0
	v_fmac_f64_e32 v[82:83], v[94:95], v[82:83]
	v_mul_f64 v[94:95], v[84:85], v[82:83]
	v_mul_f64 v[96:97], v[80:81], v[94:95]
	v_fma_f64 v[80:81], v[94:95], v[80:81], -v[96:97]
	v_fmac_f64_e32 v[80:81], v[94:95], v[72:73]
	v_add_f64 v[72:73], v[96:97], v[80:81]
	v_add_f64 v[98:99], v[84:85], -v[72:73]
	v_add_f64 v[96:97], v[72:73], -v[96:97]
	;; [unrolled: 1-line block ×5, first 2 shown]
	v_add_f64 v[72:73], v[80:81], v[72:73]
	v_add_f64 v[72:73], v[98:99], v[72:73]
	v_mul_f64 v[72:73], v[82:83], v[72:73]
	v_add_f64 v[80:81], v[94:95], v[72:73]
	v_add_f64 v[82:83], v[80:81], -v[94:95]
	v_add_f64 v[72:73], v[72:73], -v[82:83]
	v_mul_f64 v[82:83], v[80:81], v[80:81]
	v_fma_f64 v[84:85], v[80:81], v[80:81], -v[82:83]
	v_add_f64 v[94:95], v[72:73], v[72:73]
	v_fmac_f64_e32 v[84:85], v[80:81], v[94:95]
	v_add_f64 v[94:95], v[82:83], v[84:85]
	v_add_f64 v[82:83], v[94:95], -v[82:83]
	v_add_f64 v[82:83], v[84:85], -v[82:83]
	v_mov_b64_e32 v[84:85], v[28:29]
	v_fmac_f64_e32 v[84:85], s[30:31], v[94:95]
	v_mov_b64_e32 v[96:97], v[30:31]
	v_fmac_f64_e32 v[96:97], v[94:95], v[84:85]
	;; [unrolled: 2-line block ×8, first 2 shown]
	v_cvt_f64_i32_e32 v[84:85], v100
	v_mul_f64 v[98:99], v[84:85], s[34:35]
	v_mul_f64 v[104:105], v[80:81], v[94:95]
	v_fma_f64 v[100:101], v[84:85], s[34:35], -v[98:99]
	v_fma_f64 v[106:107], v[94:95], v[80:81], -v[104:105]
	v_fmac_f64_e32 v[100:101], s[36:37], v[84:85]
	v_fmac_f64_e32 v[106:107], v[94:95], v[72:73]
	v_add_f64 v[84:85], v[98:99], v[100:101]
	v_fmac_f64_e32 v[106:107], v[82:83], v[80:81]
	v_add_f64 v[98:99], v[84:85], -v[98:99]
	v_ldexp_f64 v[102:103], v[72:73], 1
	v_add_f64 v[72:73], v[104:105], v[106:107]
	v_add_f64 v[98:99], v[100:101], -v[98:99]
	v_ldexp_f64 v[100:101], v[80:81], 1
	v_add_f64 v[80:81], v[72:73], -v[104:105]
	v_mul_f64 v[104:105], v[94:95], v[96:97]
	v_fma_f64 v[94:95], v[94:95], v[96:97], -v[104:105]
	v_fmac_f64_e32 v[94:95], v[82:83], v[96:97]
	v_add_f64 v[82:83], v[104:105], v[94:95]
	v_add_f64 v[96:97], v[82:83], -v[104:105]
	v_add_f64 v[94:95], v[94:95], -v[96:97]
	v_add_f64 v[96:97], v[82:83], s[28:29]
	v_add_f64 v[104:105], v[96:97], s[38:39]
	v_add_f64 v[82:83], v[82:83], -v[104:105]
	v_add_f64 v[94:95], v[94:95], s[40:41]
	v_add_f64 v[82:83], v[94:95], v[82:83]
	;; [unrolled: 1-line block ×3, first 2 shown]
	v_add_f64 v[96:97], v[96:97], -v[94:95]
	v_add_f64 v[82:83], v[82:83], v[96:97]
	v_mul_f64 v[96:97], v[72:73], v[94:95]
	v_fma_f64 v[104:105], v[72:73], v[94:95], -v[96:97]
	v_add_f64 v[80:81], v[106:107], -v[80:81]
	v_fmac_f64_e32 v[104:105], v[72:73], v[82:83]
	v_fmac_f64_e32 v[104:105], v[80:81], v[94:95]
	v_add_f64 v[72:73], v[96:97], v[104:105]
	v_add_f64 v[80:81], v[72:73], -v[96:97]
	v_add_f64 v[82:83], v[100:101], v[72:73]
	v_add_f64 v[80:81], v[104:105], -v[80:81]
	v_add_f64 v[94:95], v[82:83], -v[100:101]
	;; [unrolled: 1-line block ×3, first 2 shown]
	v_add_f64 v[80:81], v[102:103], v[80:81]
	v_add_f64 v[72:73], v[80:81], v[72:73]
	;; [unrolled: 1-line block ×3, first 2 shown]
	v_add_f64 v[82:83], v[80:81], -v[82:83]
	v_add_f64 v[72:73], v[72:73], -v[82:83]
	v_add_f64 v[82:83], v[84:85], v[80:81]
	v_add_f64 v[94:95], v[82:83], -v[84:85]
	v_add_f64 v[96:97], v[82:83], -v[94:95]
	;; [unrolled: 1-line block ×4, first 2 shown]
	v_add_f64 v[80:81], v[80:81], v[84:85]
	v_add_f64 v[84:85], v[98:99], v[72:73]
	v_add_f64 v[94:95], v[84:85], -v[98:99]
	v_add_f64 v[80:81], v[84:85], v[80:81]
	v_add_f64 v[96:97], v[84:85], -v[94:95]
	;; [unrolled: 2-line block ×3, first 2 shown]
	v_add_f64 v[72:73], v[72:73], -v[94:95]
	v_add_f64 v[82:83], v[84:85], -v[82:83]
	v_add_f64 v[72:73], v[72:73], v[96:97]
	v_add_f64 v[80:81], v[80:81], -v[82:83]
	v_add_f64 v[72:73], v[72:73], v[80:81]
	v_add_f64 v[80:81], v[84:85], v[72:73]
	v_add_f64 v[82:83], v[80:81], -v[84:85]
	v_add_f64 v[72:73], v[72:73], -v[82:83]
	v_mul_f64 v[82:83], v[24:25], v[80:81]
	v_fma_f64 v[80:81], v[24:25], v[80:81], -v[82:83]
	v_fmac_f64_e32 v[80:81], v[24:25], v[72:73]
	v_add_f64 v[72:73], v[82:83], v[80:81]
	v_cmp_class_f64_e64 vcc, v[82:83], s74
	v_add_f64 v[84:85], v[72:73], -v[82:83]
	v_add_f64 v[80:81], v[80:81], -v[84:85]
	v_cndmask_b32_e32 v73, v73, v83, vcc
	v_cndmask_b32_e32 v72, v72, v82, vcc
	v_mul_f64 v[82:83], v[72:73], s[44:45]
	v_rndne_f64_e32 v[82:83], v[82:83]
	v_fma_f64 v[84:85], s[46:47], v[82:83], v[72:73]
	s_mov_b32 s48, s36
	v_fmac_f64_e32 v[84:85], s[48:49], v[82:83]
	v_mov_b64_e32 v[94:95], v[44:45]
	v_fmac_f64_e32 v[94:95], s[50:51], v[84:85]
	v_mov_b64_e32 v[96:97], v[46:47]
	;; [unrolled: 2-line block ×9, first 2 shown]
	v_fmac_f64_e32 v[94:95], v[84:85], v[96:97]
	v_fma_f64 v[94:95], v[84:85], v[94:95], 1.0
	v_cmp_neq_f64_e64 vcc, |v[72:73]|, s[42:43]
	v_fma_f64 v[84:85], v[84:85], v[94:95], 1.0
	v_cvt_i32_f64_e32 v82, v[82:83]
	v_cndmask_b32_e32 v81, 0, v81, vcc
	v_cndmask_b32_e32 v80, 0, v80, vcc
	v_ldexp_f64 v[82:83], v[84:85], v82
	v_cmp_nlt_f64_e32 vcc, s[52:53], v[72:73]
	v_cmp_ngt_f64_e64 s[0:1], s[54:55], v[72:73]
	v_cmp_class_f64_e64 s[8:9], v[70:71], s74
	v_cndmask_b32_e32 v83, v91, v83, vcc
	s_and_b64 vcc, s[0:1], vcc
	v_cndmask_b32_e64 v73, 0, v83, s[0:1]
	v_cndmask_b32_e32 v72, 0, v82, vcc
	v_mov_b64_e32 v[82:83], v[72:73]
	v_fmac_f64_e32 v[82:83], v[82:83], v[80:81]
	v_cmp_class_f64_e64 vcc, v[72:73], s74
	v_mul_f64 v[80:81], v[24:25], 0.5
	s_nop 0
	v_cndmask_b32_e32 v84, v82, v72, vcc
	v_cndmask_b32_e32 v85, v83, v73, vcc
	v_trunc_f64_e32 v[72:73], v[24:25]
	v_trunc_f64_e32 v[82:83], v[80:81]
	v_cmp_neq_f64_e32 vcc, v[82:83], v[80:81]
	v_cmp_eq_f64_e64 s[0:1], v[72:73], v[24:25]
	s_and_b64 vcc, s[0:1], vcc
	v_cndmask_b32_e32 v72, v90, v71, vcc
	v_bfi_b32 v72, s75, v85, v72
	v_cndmask_b32_e64 v25, 0, v84, s[0:1]
	v_cndmask_b32_e64 v73, v92, v72, s[0:1]
	v_cmp_gt_f64_e64 s[0:1], 0, v[70:71]
	s_nop 1
	v_cndmask_b32_e64 v72, v72, v73, s[0:1]
	v_cndmask_b32_e64 v25, v84, v25, s[0:1]
	v_cmp_eq_f64_e64 s[0:1], 0, v[70:71]
	v_cndmask_b32_e32 v71, 0, v71, vcc
	s_or_b64 vcc, s[0:1], s[8:9]
	v_cndmask_b32_e64 v70, v91, 0, s[0:1]
	v_bfi_b32 v71, s75, v70, v71
	v_cndmask_b32_e64 v70, v25, 0, vcc
	v_cndmask_b32_e32 v71, v72, v71, vcc
	v_ldexp_f64 v[70:71], v[70:71], -2
.LBB1_29:                               ;   in Loop: Header=BB1_6 Depth=1
	s_or_b64 exec, exec, s[6:7]
                                        ; implicit-def: $vgpr72_vgpr73
.LBB1_30:                               ;   in Loop: Header=BB1_6 Depth=1
	s_andn2_saveexec_b64 s[0:1], s[4:5]
	s_cbranch_execz .LBB1_3
; %bb.31:                               ;   in Loop: Header=BB1_6 Depth=1
	v_mul_f64 v[70:71], v[72:73], s[58:59]
	v_mul_f64 v[80:81], v[72:73], s[60:61]
	v_fma_f64 v[70:71], v[72:73], v[70:71], 1.0
	v_mul_f64 v[80:81], v[72:73], v[80:81]
	v_fmac_f64_e32 v[70:71], v[72:73], v[80:81]
	s_branch .LBB1_3
.LBB1_32:
	v_mov_b64_e32 v[0:1], 0
	v_mov_b32_e32 v22, 0x9999999a
	v_mov_b32_e32 v23, 0xc0239999
	v_mov_b64_e32 v[2:3], 0
.LBB1_33:
	global_store_dwordx4 v[20:21], v[0:3], off offset:88
	global_store_dwordx2 v[20:21], v[22:23], off offset:104
.LBB1_34:
	s_endpgm
	.section	.rodata,"a",@progbits
	.p2align	6, 0x0
	.amdhsa_kernel _Z21updateAccelerationsFPP14fluid_particlePK5param
		.amdhsa_group_segment_fixed_size 0
		.amdhsa_private_segment_fixed_size 0
		.amdhsa_kernarg_size 272
		.amdhsa_user_sgpr_count 2
		.amdhsa_user_sgpr_dispatch_ptr 0
		.amdhsa_user_sgpr_queue_ptr 0
		.amdhsa_user_sgpr_kernarg_segment_ptr 1
		.amdhsa_user_sgpr_dispatch_id 0
		.amdhsa_user_sgpr_kernarg_preload_length 0
		.amdhsa_user_sgpr_kernarg_preload_offset 0
		.amdhsa_user_sgpr_private_segment_size 0
		.amdhsa_uses_dynamic_stack 0
		.amdhsa_enable_private_segment 0
		.amdhsa_system_sgpr_workgroup_id_x 1
		.amdhsa_system_sgpr_workgroup_id_y 0
		.amdhsa_system_sgpr_workgroup_id_z 0
		.amdhsa_system_sgpr_workgroup_info 0
		.amdhsa_system_vgpr_workitem_id 0
		.amdhsa_next_free_vgpr 116
		.amdhsa_next_free_sgpr 78
		.amdhsa_accum_offset 116
		.amdhsa_reserve_vcc 1
		.amdhsa_float_round_mode_32 0
		.amdhsa_float_round_mode_16_64 0
		.amdhsa_float_denorm_mode_32 3
		.amdhsa_float_denorm_mode_16_64 3
		.amdhsa_dx10_clamp 1
		.amdhsa_ieee_mode 1
		.amdhsa_fp16_overflow 0
		.amdhsa_tg_split 0
		.amdhsa_exception_fp_ieee_invalid_op 0
		.amdhsa_exception_fp_denorm_src 0
		.amdhsa_exception_fp_ieee_div_zero 0
		.amdhsa_exception_fp_ieee_overflow 0
		.amdhsa_exception_fp_ieee_underflow 0
		.amdhsa_exception_fp_ieee_inexact 0
		.amdhsa_exception_int_div_zero 0
	.end_amdhsa_kernel
	.text
.Lfunc_end1:
	.size	_Z21updateAccelerationsFPP14fluid_particlePK5param, .Lfunc_end1-_Z21updateAccelerationsFPP14fluid_particlePK5param
                                        ; -- End function
	.set _Z21updateAccelerationsFPP14fluid_particlePK5param.num_vgpr, 116
	.set _Z21updateAccelerationsFPP14fluid_particlePK5param.num_agpr, 0
	.set _Z21updateAccelerationsFPP14fluid_particlePK5param.numbered_sgpr, 78
	.set _Z21updateAccelerationsFPP14fluid_particlePK5param.num_named_barrier, 0
	.set _Z21updateAccelerationsFPP14fluid_particlePK5param.private_seg_size, 0
	.set _Z21updateAccelerationsFPP14fluid_particlePK5param.uses_vcc, 1
	.set _Z21updateAccelerationsFPP14fluid_particlePK5param.uses_flat_scratch, 0
	.set _Z21updateAccelerationsFPP14fluid_particlePK5param.has_dyn_sized_stack, 0
	.set _Z21updateAccelerationsFPP14fluid_particlePK5param.has_recursion, 0
	.set _Z21updateAccelerationsFPP14fluid_particlePK5param.has_indirect_call, 0
	.section	.AMDGPU.csdata,"",@progbits
; Kernel info:
; codeLenInByte = 6348
; TotalNumSgprs: 84
; NumVgprs: 116
; NumAgprs: 0
; TotalNumVgprs: 116
; ScratchSize: 0
; MemoryBound: 1
; FloatMode: 240
; IeeeMode: 1
; LDSByteSize: 0 bytes/workgroup (compile time only)
; SGPRBlocks: 10
; VGPRBlocks: 14
; NumSGPRsForWavesPerEU: 84
; NumVGPRsForWavesPerEU: 116
; AccumOffset: 116
; Occupancy: 4
; WaveLimiterHint : 0
; COMPUTE_PGM_RSRC2:SCRATCH_EN: 0
; COMPUTE_PGM_RSRC2:USER_SGPR: 2
; COMPUTE_PGM_RSRC2:TRAP_HANDLER: 0
; COMPUTE_PGM_RSRC2:TGID_X_EN: 1
; COMPUTE_PGM_RSRC2:TGID_Y_EN: 0
; COMPUTE_PGM_RSRC2:TGID_Z_EN: 0
; COMPUTE_PGM_RSRC2:TIDIG_COMP_CNT: 0
; COMPUTE_PGM_RSRC3_GFX90A:ACCUM_OFFSET: 28
; COMPUTE_PGM_RSRC3_GFX90A:TG_SPLIT: 0
	.text
	.protected	_Z21updateAccelerationsBPP14fluid_particlePK17boundary_particlePK5param ; -- Begin function _Z21updateAccelerationsBPP14fluid_particlePK17boundary_particlePK5param
	.globl	_Z21updateAccelerationsBPP14fluid_particlePK17boundary_particlePK5param
	.p2align	8
	.type	_Z21updateAccelerationsBPP14fluid_particlePK17boundary_particlePK5param,@function
_Z21updateAccelerationsBPP14fluid_particlePK17boundary_particlePK5param: ; @_Z21updateAccelerationsBPP14fluid_particlePK17boundary_particlePK5param
; %bb.0:
	s_load_dwordx2 s[4:5], s[0:1], 0x10
	s_load_dword s3, s[0:1], 0x24
	s_waitcnt lgkmcnt(0)
	s_and_b32 s3, s3, 0xffff
	s_load_dwordx2 s[12:13], s[4:5], 0x4c
	s_mul_i32 s2, s2, s3
	v_add_u32_e32 v0, s2, v0
	s_waitcnt lgkmcnt(0)
	v_cmp_gt_i32_e32 vcc, s12, v0
	s_and_saveexec_b64 s[2:3], vcc
	s_cbranch_execz .LBB2_11
; %bb.1:
	s_load_dwordx2 s[2:3], s[0:1], 0x0
	s_movk_i32 s6, 0x70
	s_cmp_lt_i32 s13, 1
	s_waitcnt lgkmcnt(0)
	v_mov_b64_e32 v[2:3], s[2:3]
	v_mad_i64_i32 v[8:9], s[2:3], v0, s6, v[2:3]
	global_load_dwordx2 v[10:11], v[8:9], off offset:104
	global_load_dwordx4 v[0:3], v[8:9], off offset:88
	s_cbranch_scc1 .LBB2_10
; %bb.2:
	global_load_dwordx2 v[12:13], v[8:9], off offset:32
	global_load_dwordx4 v[4:7], v[8:9], off offset:16
	s_load_dwordx2 s[2:3], s[0:1], 0x8
	s_load_dwordx2 s[14:15], s[4:5], 0x18
	;; [unrolled: 1-line block ×3, first 2 shown]
	s_mov_b32 s20, 0
	s_mov_b32 s22, 0x55555555
	s_waitcnt lgkmcnt(0)
	s_add_u32 s18, s2, 24
	s_mov_b32 s24, 0
	s_mov_b32 s26, 0x47ae147b
	s_addc_u32 s19, s3, 0
	s_brev_b32 s21, 8
	v_mov_b32_e32 v28, 0x100
	v_mov_b32_e32 v29, 0xffffff80
	;; [unrolled: 1-line block ×3, first 2 shown]
	s_mov_b32 s23, 0x3fe55555
	s_mov_b32 s25, 0xbff80000
	v_mov_b32_e32 v14, 0
	s_mov_b32 s27, 0x3f947ae1
	v_mov_b32_e32 v31, 0x3ff00000
	s_branch .LBB2_5
.LBB2_3:                                ;   in Loop: Header=BB2_5 Depth=1
	s_or_b64 exec, exec, s[0:1]
.LBB2_4:                                ;   in Loop: Header=BB2_5 Depth=1
	s_or_b64 exec, exec, s[2:3]
	v_add_f64 v[20:21], v[20:21], v[22:23]
	v_add_f64 v[20:21], v[24:25], v[20:21]
	v_cmp_gt_f64_e32 vcc, s[20:21], v[20:21]
	s_add_i32 s13, s13, -1
	s_add_u32 s18, s18, 48
	v_cndmask_b32_e32 v15, 0, v28, vcc
	v_ldexp_f64 v[20:21], v[20:21], v15
	v_rsq_f64_e32 v[22:23], v[20:21]
	v_cndmask_b32_e32 v15, 0, v29, vcc
	v_cmp_class_f64_e32 vcc, v[20:21], v30
	s_addc_u32 s19, s19, 0
	v_mul_f64 v[24:25], v[20:21], v[22:23]
	v_mul_f64 v[22:23], v[22:23], 0.5
	v_fma_f64 v[26:27], -v[22:23], v[24:25], 0.5
	v_fmac_f64_e32 v[24:25], v[24:25], v[26:27]
	v_fmac_f64_e32 v[22:23], v[22:23], v[26:27]
	v_fma_f64 v[26:27], -v[24:25], v[24:25], v[20:21]
	v_fmac_f64_e32 v[24:25], v[26:27], v[22:23]
	v_fma_f64 v[26:27], -v[24:25], v[24:25], v[20:21]
	v_fmac_f64_e32 v[24:25], v[26:27], v[22:23]
	v_ldexp_f64 v[22:23], v[24:25], v15
	v_cndmask_b32_e32 v21, v23, v21, vcc
	v_cndmask_b32_e32 v20, v22, v20, vcc
	v_add_f64 v[20:21], v[20:21], -v[16:17]
	v_div_scale_f64 v[22:23], s[0:1], s[14:15], s[14:15], v[20:21]
	v_rcp_f64_e32 v[24:25], v[22:23]
	s_cmp_eq_u32 s13, 0
	v_fma_f64 v[26:27], -v[22:23], v[24:25], 1.0
	v_fmac_f64_e32 v[24:25], v[24:25], v[26:27]
	v_fma_f64 v[26:27], -v[22:23], v[24:25], 1.0
	v_fmac_f64_e32 v[24:25], v[24:25], v[26:27]
	v_div_scale_f64 v[26:27], vcc, v[20:21], s[14:15], v[20:21]
	v_mul_f64 v[32:33], v[26:27], v[24:25]
	v_fma_f64 v[22:23], -v[22:23], v[32:33], v[26:27]
	s_nop 1
	v_div_fmas_f64 v[22:23], v[22:23], v[24:25], v[32:33]
	v_cmp_gt_f64_e32 vcc, s[14:15], v[20:21]
	v_div_fixup_f64 v[22:23], v[22:23], s[14:15], v[20:21]
	s_nop 0
	v_cndmask_b32_e32 v15, 0, v31, vcc
	v_add_f64 v[20:21], v[14:15], v[14:15]
	v_mul_f64 v[20:21], v[20:21], s[26:27]
	v_cmp_neq_f64_e32 vcc, 1.0, v[22:23]
	s_nop 1
	v_cndmask_b32_e32 v21, 0, v21, vcc
	v_cndmask_b32_e32 v20, 0, v20, vcc
	v_mul_f64 v[20:21], s[16:17], v[20:21]
	v_mul_f64 v[20:21], s[16:17], v[20:21]
	v_div_scale_f64 v[22:23], s[0:1], v[16:17], v[16:17], v[20:21]
	v_rcp_f64_e32 v[24:25], v[22:23]
	s_nop 0
	v_fma_f64 v[26:27], -v[22:23], v[24:25], 1.0
	v_fmac_f64_e32 v[24:25], v[24:25], v[26:27]
	v_fma_f64 v[26:27], -v[22:23], v[24:25], 1.0
	v_fmac_f64_e32 v[24:25], v[24:25], v[26:27]
	v_div_scale_f64 v[26:27], vcc, v[20:21], v[16:17], v[20:21]
	v_mul_f64 v[32:33], v[26:27], v[24:25]
	v_fma_f64 v[22:23], -v[22:23], v[32:33], v[26:27]
	s_nop 1
	v_div_fmas_f64 v[22:23], v[22:23], v[24:25], v[32:33]
	v_div_fixup_f64 v[16:17], v[22:23], v[16:17], v[20:21]
	v_mul_f64 v[16:17], v[16:17], v[18:19]
	v_fmac_f64_e32 v[0:1], s[6:7], v[16:17]
	v_fmac_f64_e32 v[2:3], s[8:9], v[16:17]
	;; [unrolled: 1-line block ×3, first 2 shown]
	s_cbranch_scc1 .LBB2_10
.LBB2_5:                                ; =>This Inner Loop Header: Depth=1
	s_add_u32 s28, s18, 0xffffffe8
	s_addc_u32 s29, s19, -1
	s_load_dwordx8 s[0:7], s[28:29], 0x0
	s_load_dwordx4 s[8:11], s[18:19], 0x8
	s_waitcnt vmcnt(0) lgkmcnt(0)
	v_add_f64 v[18:19], v[6:7], -s[2:3]
	v_add_f64 v[16:17], v[4:5], -s[0:1]
	v_mul_f64 v[22:23], v[18:19], v[18:19]
	v_mul_f64 v[18:19], s[8:9], s[8:9]
	v_add_f64 v[24:25], v[12:13], -s[4:5]
	v_mul_f64 v[20:21], v[16:17], v[16:17]
	v_mul_f64 v[16:17], s[6:7], s[6:7]
	;; [unrolled: 1-line block ×4, first 2 shown]
	v_fmac_f64_e32 v[18:19], v[20:21], v[16:17]
	v_mul_f64 v[16:17], s[10:11], s[10:11]
	v_fmac_f64_e32 v[18:19], v[24:25], v[16:17]
	v_cmp_gt_f64_e32 vcc, s[20:21], v[18:19]
	s_nop 1
	v_cndmask_b32_e32 v15, 0, v28, vcc
	v_ldexp_f64 v[16:17], v[18:19], v15
	v_rsq_f64_e32 v[18:19], v[16:17]
	v_cndmask_b32_e32 v15, 0, v29, vcc
	v_cmp_class_f64_e32 vcc, v[16:17], v30
	v_mul_f64 v[26:27], v[16:17], v[18:19]
	v_mul_f64 v[18:19], v[18:19], 0.5
	v_fma_f64 v[32:33], -v[18:19], v[26:27], 0.5
	v_fmac_f64_e32 v[26:27], v[26:27], v[32:33]
	v_fma_f64 v[34:35], -v[26:27], v[26:27], v[16:17]
	v_fmac_f64_e32 v[18:19], v[18:19], v[32:33]
	v_fmac_f64_e32 v[26:27], v[34:35], v[18:19]
	v_fma_f64 v[32:33], -v[26:27], v[26:27], v[16:17]
	v_fmac_f64_e32 v[26:27], v[32:33], v[18:19]
	v_ldexp_f64 v[18:19], v[26:27], v15
	v_cndmask_b32_e32 v17, v19, v17, vcc
	v_cndmask_b32_e32 v16, v18, v16, vcc
	v_div_scale_f64 v[18:19], s[0:1], s[14:15], s[14:15], v[16:17]
	v_rcp_f64_e32 v[26:27], v[18:19]
	s_nop 0
	v_fma_f64 v[32:33], -v[18:19], v[26:27], 1.0
	v_fmac_f64_e32 v[26:27], v[26:27], v[32:33]
	v_fma_f64 v[32:33], -v[18:19], v[26:27], 1.0
	v_fmac_f64_e32 v[26:27], v[26:27], v[32:33]
	v_div_scale_f64 v[32:33], vcc, v[16:17], s[14:15], v[16:17]
	v_mul_f64 v[34:35], v[32:33], v[26:27]
	v_fma_f64 v[18:19], -v[18:19], v[34:35], v[32:33]
	s_nop 1
	v_div_fmas_f64 v[18:19], v[18:19], v[26:27], v[34:35]
	v_div_fixup_f64 v[26:27], v[18:19], s[14:15], v[16:17]
	v_cmp_nlt_f64_e32 vcc, 0, v[26:27]
	v_cmp_ngt_f64_e64 s[0:1], s[22:23], v[26:27]
	s_or_b64 s[0:1], vcc, s[0:1]
	v_mov_b64_e32 v[18:19], s[22:23]
	s_and_saveexec_b64 s[2:3], s[0:1]
	s_cbranch_execz .LBB2_4
; %bb.6:                                ;   in Loop: Header=BB2_5 Depth=1
	v_cmp_ngt_f64_e32 vcc, 1.0, v[26:27]
	v_cmp_nlt_f64_e64 s[0:1], s[22:23], v[26:27]
	s_or_b64 s[0:1], vcc, s[0:1]
                                        ; implicit-def: $vgpr18_vgpr19
	s_and_saveexec_b64 s[4:5], s[0:1]
	s_xor_b64 s[4:5], exec, s[4:5]
; %bb.7:                                ;   in Loop: Header=BB2_5 Depth=1
	v_add_f64 v[18:19], -v[26:27], 2.0
	v_cmp_gt_f64_e32 vcc, 2.0, v[26:27]
	v_cmp_lt_f64_e64 s[0:1], 1.0, v[26:27]
	v_mul_f64 v[26:27], v[18:19], 0.5
	v_mul_f64 v[18:19], v[18:19], v[26:27]
	s_and_b64 vcc, vcc, s[0:1]
	v_cndmask_b32_e32 v19, 0, v19, vcc
	v_cndmask_b32_e32 v18, 0, v18, vcc
                                        ; implicit-def: $vgpr26_vgpr27
; %bb.8:                                ;   in Loop: Header=BB2_5 Depth=1
	s_andn2_saveexec_b64 s[0:1], s[4:5]
	s_cbranch_execz .LBB2_3
; %bb.9:                                ;   in Loop: Header=BB2_5 Depth=1
	v_mul_f64 v[18:19], v[26:27], s[24:25]
	v_mul_f64 v[18:19], v[26:27], v[18:19]
	v_fmac_f64_e32 v[18:19], 2.0, v[26:27]
	s_branch .LBB2_3
.LBB2_10:
	s_waitcnt vmcnt(0)
	global_store_dwordx4 v[8:9], v[0:3], off offset:88
	global_store_dwordx2 v[8:9], v[10:11], off offset:104
.LBB2_11:
	s_endpgm
	.section	.rodata,"a",@progbits
	.p2align	6, 0x0
	.amdhsa_kernel _Z21updateAccelerationsBPP14fluid_particlePK17boundary_particlePK5param
		.amdhsa_group_segment_fixed_size 0
		.amdhsa_private_segment_fixed_size 0
		.amdhsa_kernarg_size 280
		.amdhsa_user_sgpr_count 2
		.amdhsa_user_sgpr_dispatch_ptr 0
		.amdhsa_user_sgpr_queue_ptr 0
		.amdhsa_user_sgpr_kernarg_segment_ptr 1
		.amdhsa_user_sgpr_dispatch_id 0
		.amdhsa_user_sgpr_kernarg_preload_length 0
		.amdhsa_user_sgpr_kernarg_preload_offset 0
		.amdhsa_user_sgpr_private_segment_size 0
		.amdhsa_uses_dynamic_stack 0
		.amdhsa_enable_private_segment 0
		.amdhsa_system_sgpr_workgroup_id_x 1
		.amdhsa_system_sgpr_workgroup_id_y 0
		.amdhsa_system_sgpr_workgroup_id_z 0
		.amdhsa_system_sgpr_workgroup_info 0
		.amdhsa_system_vgpr_workitem_id 0
		.amdhsa_next_free_vgpr 36
		.amdhsa_next_free_sgpr 30
		.amdhsa_accum_offset 36
		.amdhsa_reserve_vcc 1
		.amdhsa_float_round_mode_32 0
		.amdhsa_float_round_mode_16_64 0
		.amdhsa_float_denorm_mode_32 3
		.amdhsa_float_denorm_mode_16_64 3
		.amdhsa_dx10_clamp 1
		.amdhsa_ieee_mode 1
		.amdhsa_fp16_overflow 0
		.amdhsa_tg_split 0
		.amdhsa_exception_fp_ieee_invalid_op 0
		.amdhsa_exception_fp_denorm_src 0
		.amdhsa_exception_fp_ieee_div_zero 0
		.amdhsa_exception_fp_ieee_overflow 0
		.amdhsa_exception_fp_ieee_underflow 0
		.amdhsa_exception_fp_ieee_inexact 0
		.amdhsa_exception_int_div_zero 0
	.end_amdhsa_kernel
	.text
.Lfunc_end2:
	.size	_Z21updateAccelerationsBPP14fluid_particlePK17boundary_particlePK5param, .Lfunc_end2-_Z21updateAccelerationsBPP14fluid_particlePK17boundary_particlePK5param
                                        ; -- End function
	.set _Z21updateAccelerationsBPP14fluid_particlePK17boundary_particlePK5param.num_vgpr, 36
	.set _Z21updateAccelerationsBPP14fluid_particlePK17boundary_particlePK5param.num_agpr, 0
	.set _Z21updateAccelerationsBPP14fluid_particlePK17boundary_particlePK5param.numbered_sgpr, 30
	.set _Z21updateAccelerationsBPP14fluid_particlePK17boundary_particlePK5param.num_named_barrier, 0
	.set _Z21updateAccelerationsBPP14fluid_particlePK17boundary_particlePK5param.private_seg_size, 0
	.set _Z21updateAccelerationsBPP14fluid_particlePK17boundary_particlePK5param.uses_vcc, 1
	.set _Z21updateAccelerationsBPP14fluid_particlePK17boundary_particlePK5param.uses_flat_scratch, 0
	.set _Z21updateAccelerationsBPP14fluid_particlePK17boundary_particlePK5param.has_dyn_sized_stack, 0
	.set _Z21updateAccelerationsBPP14fluid_particlePK17boundary_particlePK5param.has_recursion, 0
	.set _Z21updateAccelerationsBPP14fluid_particlePK17boundary_particlePK5param.has_indirect_call, 0
	.section	.AMDGPU.csdata,"",@progbits
; Kernel info:
; codeLenInByte = 1116
; TotalNumSgprs: 36
; NumVgprs: 36
; NumAgprs: 0
; TotalNumVgprs: 36
; ScratchSize: 0
; MemoryBound: 1
; FloatMode: 240
; IeeeMode: 1
; LDSByteSize: 0 bytes/workgroup (compile time only)
; SGPRBlocks: 4
; VGPRBlocks: 4
; NumSGPRsForWavesPerEU: 36
; NumVGPRsForWavesPerEU: 36
; AccumOffset: 36
; Occupancy: 8
; WaveLimiterHint : 0
; COMPUTE_PGM_RSRC2:SCRATCH_EN: 0
; COMPUTE_PGM_RSRC2:USER_SGPR: 2
; COMPUTE_PGM_RSRC2:TRAP_HANDLER: 0
; COMPUTE_PGM_RSRC2:TGID_X_EN: 1
; COMPUTE_PGM_RSRC2:TGID_Y_EN: 0
; COMPUTE_PGM_RSRC2:TGID_Z_EN: 0
; COMPUTE_PGM_RSRC2:TIDIG_COMP_CNT: 0
; COMPUTE_PGM_RSRC3_GFX90A:ACCUM_OFFSET: 8
; COMPUTE_PGM_RSRC3_GFX90A:TG_SPLIT: 0
	.text
	.protected	_Z15updatePositionsP14fluid_particlePK5param ; -- Begin function _Z15updatePositionsP14fluid_particlePK5param
	.globl	_Z15updatePositionsP14fluid_particlePK5param
	.p2align	8
	.type	_Z15updatePositionsP14fluid_particlePK5param,@function
_Z15updatePositionsP14fluid_particlePK5param: ; @_Z15updatePositionsP14fluid_particlePK5param
; %bb.0:
	s_load_dwordx2 s[4:5], s[0:1], 0x8
	s_load_dword s3, s[0:1], 0x1c
	s_waitcnt lgkmcnt(0)
	s_and_b32 s3, s3, 0xffff
	s_load_dword s6, s[4:5], 0x4c
	s_mul_i32 s2, s2, s3
	v_add_u32_e32 v0, s2, v0
	s_waitcnt lgkmcnt(0)
	v_cmp_gt_i32_e32 vcc, s6, v0
	s_and_saveexec_b64 s[2:3], vcc
	s_cbranch_execz .LBB3_2
; %bb.1:
	s_load_dwordx2 s[0:1], s[0:1], 0x0
	s_movk_i32 s2, 0x70
	s_waitcnt lgkmcnt(0)
	v_mov_b64_e32 v[2:3], s[0:1]
	v_mad_i64_i32 v[20:21], s[0:1], v0, s2, v[2:3]
	global_load_dwordx4 v[0:3], v[20:21], off offset:80
	global_load_dwordx4 v[4:7], v[20:21], off offset:64
	;; [unrolled: 1-line block ×4, first 2 shown]
	global_load_dwordx2 v[16:17], v[20:21], off offset:32
	s_load_dwordx2 s[0:1], s[4:5], 0x28
	s_waitcnt lgkmcnt(0)
	v_mul_f64 v[22:23], s[0:1], 0.5
	s_waitcnt vmcnt(3)
	v_fmac_f64_e32 v[4:5], s[0:1], v[2:3]
	s_waitcnt vmcnt(2)
	v_fmac_f64_e32 v[6:7], s[0:1], v[8:9]
	v_fmac_f64_e32 v[0:1], s[0:1], v[10:11]
	v_fma_f64 v[18:19], v[22:23], v[2:3], v[4:5]
	v_fma_f64 v[8:9], v[22:23], v[8:9], v[6:7]
	;; [unrolled: 1-line block ×3, first 2 shown]
	s_waitcnt vmcnt(1)
	v_fmac_f64_e32 v[12:13], s[0:1], v[4:5]
	v_fmac_f64_e32 v[14:15], s[0:1], v[6:7]
	s_waitcnt vmcnt(0)
	v_fmac_f64_e32 v[16:17], s[0:1], v[0:1]
	global_store_dwordx4 v[20:21], v[4:7], off offset:64
	global_store_dwordx2 v[20:21], v[0:1], off offset:80
	global_store_dwordx4 v[20:21], v[8:11], off offset:48
	global_store_dwordx4 v[20:21], v[12:15], off offset:16
	;; [unrolled: 1-line block ×3, first 2 shown]
.LBB3_2:
	s_endpgm
	.section	.rodata,"a",@progbits
	.p2align	6, 0x0
	.amdhsa_kernel _Z15updatePositionsP14fluid_particlePK5param
		.amdhsa_group_segment_fixed_size 0
		.amdhsa_private_segment_fixed_size 0
		.amdhsa_kernarg_size 272
		.amdhsa_user_sgpr_count 2
		.amdhsa_user_sgpr_dispatch_ptr 0
		.amdhsa_user_sgpr_queue_ptr 0
		.amdhsa_user_sgpr_kernarg_segment_ptr 1
		.amdhsa_user_sgpr_dispatch_id 0
		.amdhsa_user_sgpr_kernarg_preload_length 0
		.amdhsa_user_sgpr_kernarg_preload_offset 0
		.amdhsa_user_sgpr_private_segment_size 0
		.amdhsa_uses_dynamic_stack 0
		.amdhsa_enable_private_segment 0
		.amdhsa_system_sgpr_workgroup_id_x 1
		.amdhsa_system_sgpr_workgroup_id_y 0
		.amdhsa_system_sgpr_workgroup_id_z 0
		.amdhsa_system_sgpr_workgroup_info 0
		.amdhsa_system_vgpr_workitem_id 0
		.amdhsa_next_free_vgpr 24
		.amdhsa_next_free_sgpr 7
		.amdhsa_accum_offset 24
		.amdhsa_reserve_vcc 1
		.amdhsa_float_round_mode_32 0
		.amdhsa_float_round_mode_16_64 0
		.amdhsa_float_denorm_mode_32 3
		.amdhsa_float_denorm_mode_16_64 3
		.amdhsa_dx10_clamp 1
		.amdhsa_ieee_mode 1
		.amdhsa_fp16_overflow 0
		.amdhsa_tg_split 0
		.amdhsa_exception_fp_ieee_invalid_op 0
		.amdhsa_exception_fp_denorm_src 0
		.amdhsa_exception_fp_ieee_div_zero 0
		.amdhsa_exception_fp_ieee_overflow 0
		.amdhsa_exception_fp_ieee_underflow 0
		.amdhsa_exception_fp_ieee_inexact 0
		.amdhsa_exception_int_div_zero 0
	.end_amdhsa_kernel
	.text
.Lfunc_end3:
	.size	_Z15updatePositionsP14fluid_particlePK5param, .Lfunc_end3-_Z15updatePositionsP14fluid_particlePK5param
                                        ; -- End function
	.set _Z15updatePositionsP14fluid_particlePK5param.num_vgpr, 24
	.set _Z15updatePositionsP14fluid_particlePK5param.num_agpr, 0
	.set _Z15updatePositionsP14fluid_particlePK5param.numbered_sgpr, 7
	.set _Z15updatePositionsP14fluid_particlePK5param.num_named_barrier, 0
	.set _Z15updatePositionsP14fluid_particlePK5param.private_seg_size, 0
	.set _Z15updatePositionsP14fluid_particlePK5param.uses_vcc, 1
	.set _Z15updatePositionsP14fluid_particlePK5param.uses_flat_scratch, 0
	.set _Z15updatePositionsP14fluid_particlePK5param.has_dyn_sized_stack, 0
	.set _Z15updatePositionsP14fluid_particlePK5param.has_recursion, 0
	.set _Z15updatePositionsP14fluid_particlePK5param.has_indirect_call, 0
	.section	.AMDGPU.csdata,"",@progbits
; Kernel info:
; codeLenInByte = 256
; TotalNumSgprs: 13
; NumVgprs: 24
; NumAgprs: 0
; TotalNumVgprs: 24
; ScratchSize: 0
; MemoryBound: 0
; FloatMode: 240
; IeeeMode: 1
; LDSByteSize: 0 bytes/workgroup (compile time only)
; SGPRBlocks: 1
; VGPRBlocks: 2
; NumSGPRsForWavesPerEU: 13
; NumVGPRsForWavesPerEU: 24
; AccumOffset: 24
; Occupancy: 8
; WaveLimiterHint : 0
; COMPUTE_PGM_RSRC2:SCRATCH_EN: 0
; COMPUTE_PGM_RSRC2:USER_SGPR: 2
; COMPUTE_PGM_RSRC2:TRAP_HANDLER: 0
; COMPUTE_PGM_RSRC2:TGID_X_EN: 1
; COMPUTE_PGM_RSRC2:TGID_Y_EN: 0
; COMPUTE_PGM_RSRC2:TGID_Z_EN: 0
; COMPUTE_PGM_RSRC2:TIDIG_COMP_CNT: 0
; COMPUTE_PGM_RSRC3_GFX90A:ACCUM_OFFSET: 5
; COMPUTE_PGM_RSRC3_GFX90A:TG_SPLIT: 0
	.text
	.p2alignl 6, 3212836864
	.fill 256, 4, 3212836864
	.section	.AMDGPU.gpr_maximums,"",@progbits
	.set amdgpu.max_num_vgpr, 0
	.set amdgpu.max_num_agpr, 0
	.set amdgpu.max_num_sgpr, 0
	.text
	.type	__hip_cuid_8e3716d21976becf,@object ; @__hip_cuid_8e3716d21976becf
	.section	.bss,"aw",@nobits
	.globl	__hip_cuid_8e3716d21976becf
__hip_cuid_8e3716d21976becf:
	.byte	0                               ; 0x0
	.size	__hip_cuid_8e3716d21976becf, 1

	.ident	"AMD clang version 22.0.0git (https://github.com/RadeonOpenCompute/llvm-project roc-7.2.4 26084 f58b06dce1f9c15707c5f808fd002e18c2accf7e)"
	.section	".note.GNU-stack","",@progbits
	.addrsig
	.addrsig_sym __hip_cuid_8e3716d21976becf
	.amdgpu_metadata
---
amdhsa.kernels:
  - .agpr_count:     0
    .args:
      - .address_space:  global
        .offset:         0
        .size:           8
        .value_kind:     global_buffer
      - .actual_access:  read_only
        .address_space:  global
        .offset:         8
        .size:           8
        .value_kind:     global_buffer
      - .offset:         16
        .size:           4
        .value_kind:     hidden_block_count_x
      - .offset:         20
        .size:           4
        .value_kind:     hidden_block_count_y
      - .offset:         24
        .size:           4
        .value_kind:     hidden_block_count_z
      - .offset:         28
        .size:           2
        .value_kind:     hidden_group_size_x
      - .offset:         30
        .size:           2
        .value_kind:     hidden_group_size_y
      - .offset:         32
        .size:           2
        .value_kind:     hidden_group_size_z
      - .offset:         34
        .size:           2
        .value_kind:     hidden_remainder_x
      - .offset:         36
        .size:           2
        .value_kind:     hidden_remainder_y
      - .offset:         38
        .size:           2
        .value_kind:     hidden_remainder_z
      - .offset:         56
        .size:           8
        .value_kind:     hidden_global_offset_x
      - .offset:         64
        .size:           8
        .value_kind:     hidden_global_offset_y
      - .offset:         72
        .size:           8
        .value_kind:     hidden_global_offset_z
      - .offset:         80
        .size:           2
        .value_kind:     hidden_grid_dims
    .group_segment_fixed_size: 0
    .kernarg_segment_align: 8
    .kernarg_segment_size: 272
    .language:       OpenCL C
    .language_version:
      - 2
      - 0
    .max_flat_workgroup_size: 1024
    .name:           _Z15updatePressuresP14fluid_particlePK5param
    .private_segment_fixed_size: 0
    .sgpr_count:     66
    .sgpr_spill_count: 0
    .symbol:         _Z15updatePressuresP14fluid_particlePK5param.kd
    .uniform_work_group_size: 1
    .uses_dynamic_stack: false
    .vgpr_count:     96
    .vgpr_spill_count: 0
    .wavefront_size: 64
  - .agpr_count:     0
    .args:
      - .address_space:  global
        .offset:         0
        .size:           8
        .value_kind:     global_buffer
      - .actual_access:  read_only
        .address_space:  global
        .offset:         8
        .size:           8
        .value_kind:     global_buffer
      - .offset:         16
        .size:           4
        .value_kind:     hidden_block_count_x
      - .offset:         20
        .size:           4
        .value_kind:     hidden_block_count_y
      - .offset:         24
        .size:           4
        .value_kind:     hidden_block_count_z
      - .offset:         28
        .size:           2
        .value_kind:     hidden_group_size_x
      - .offset:         30
        .size:           2
        .value_kind:     hidden_group_size_y
      - .offset:         32
        .size:           2
        .value_kind:     hidden_group_size_z
      - .offset:         34
        .size:           2
        .value_kind:     hidden_remainder_x
      - .offset:         36
        .size:           2
        .value_kind:     hidden_remainder_y
      - .offset:         38
        .size:           2
        .value_kind:     hidden_remainder_z
      - .offset:         56
        .size:           8
        .value_kind:     hidden_global_offset_x
      - .offset:         64
        .size:           8
        .value_kind:     hidden_global_offset_y
      - .offset:         72
        .size:           8
        .value_kind:     hidden_global_offset_z
      - .offset:         80
        .size:           2
        .value_kind:     hidden_grid_dims
    .group_segment_fixed_size: 0
    .kernarg_segment_align: 8
    .kernarg_segment_size: 272
    .language:       OpenCL C
    .language_version:
      - 2
      - 0
    .max_flat_workgroup_size: 1024
    .name:           _Z21updateAccelerationsFPP14fluid_particlePK5param
    .private_segment_fixed_size: 0
    .sgpr_count:     84
    .sgpr_spill_count: 0
    .symbol:         _Z21updateAccelerationsFPP14fluid_particlePK5param.kd
    .uniform_work_group_size: 1
    .uses_dynamic_stack: false
    .vgpr_count:     116
    .vgpr_spill_count: 0
    .wavefront_size: 64
  - .agpr_count:     0
    .args:
      - .address_space:  global
        .offset:         0
        .size:           8
        .value_kind:     global_buffer
      - .actual_access:  read_only
        .address_space:  global
        .offset:         8
        .size:           8
        .value_kind:     global_buffer
      - .actual_access:  read_only
        .address_space:  global
        .offset:         16
        .size:           8
        .value_kind:     global_buffer
      - .offset:         24
        .size:           4
        .value_kind:     hidden_block_count_x
      - .offset:         28
        .size:           4
        .value_kind:     hidden_block_count_y
      - .offset:         32
        .size:           4
        .value_kind:     hidden_block_count_z
      - .offset:         36
        .size:           2
        .value_kind:     hidden_group_size_x
      - .offset:         38
        .size:           2
        .value_kind:     hidden_group_size_y
      - .offset:         40
        .size:           2
        .value_kind:     hidden_group_size_z
      - .offset:         42
        .size:           2
        .value_kind:     hidden_remainder_x
      - .offset:         44
        .size:           2
        .value_kind:     hidden_remainder_y
      - .offset:         46
        .size:           2
        .value_kind:     hidden_remainder_z
      - .offset:         64
        .size:           8
        .value_kind:     hidden_global_offset_x
      - .offset:         72
        .size:           8
        .value_kind:     hidden_global_offset_y
      - .offset:         80
        .size:           8
        .value_kind:     hidden_global_offset_z
      - .offset:         88
        .size:           2
        .value_kind:     hidden_grid_dims
    .group_segment_fixed_size: 0
    .kernarg_segment_align: 8
    .kernarg_segment_size: 280
    .language:       OpenCL C
    .language_version:
      - 2
      - 0
    .max_flat_workgroup_size: 1024
    .name:           _Z21updateAccelerationsBPP14fluid_particlePK17boundary_particlePK5param
    .private_segment_fixed_size: 0
    .sgpr_count:     36
    .sgpr_spill_count: 0
    .symbol:         _Z21updateAccelerationsBPP14fluid_particlePK17boundary_particlePK5param.kd
    .uniform_work_group_size: 1
    .uses_dynamic_stack: false
    .vgpr_count:     36
    .vgpr_spill_count: 0
    .wavefront_size: 64
  - .agpr_count:     0
    .args:
      - .address_space:  global
        .offset:         0
        .size:           8
        .value_kind:     global_buffer
      - .actual_access:  read_only
        .address_space:  global
        .offset:         8
        .size:           8
        .value_kind:     global_buffer
      - .offset:         16
        .size:           4
        .value_kind:     hidden_block_count_x
      - .offset:         20
        .size:           4
        .value_kind:     hidden_block_count_y
      - .offset:         24
        .size:           4
        .value_kind:     hidden_block_count_z
      - .offset:         28
        .size:           2
        .value_kind:     hidden_group_size_x
      - .offset:         30
        .size:           2
        .value_kind:     hidden_group_size_y
      - .offset:         32
        .size:           2
        .value_kind:     hidden_group_size_z
      - .offset:         34
        .size:           2
        .value_kind:     hidden_remainder_x
      - .offset:         36
        .size:           2
        .value_kind:     hidden_remainder_y
      - .offset:         38
        .size:           2
        .value_kind:     hidden_remainder_z
      - .offset:         56
        .size:           8
        .value_kind:     hidden_global_offset_x
      - .offset:         64
        .size:           8
        .value_kind:     hidden_global_offset_y
      - .offset:         72
        .size:           8
        .value_kind:     hidden_global_offset_z
      - .offset:         80
        .size:           2
        .value_kind:     hidden_grid_dims
    .group_segment_fixed_size: 0
    .kernarg_segment_align: 8
    .kernarg_segment_size: 272
    .language:       OpenCL C
    .language_version:
      - 2
      - 0
    .max_flat_workgroup_size: 1024
    .name:           _Z15updatePositionsP14fluid_particlePK5param
    .private_segment_fixed_size: 0
    .sgpr_count:     13
    .sgpr_spill_count: 0
    .symbol:         _Z15updatePositionsP14fluid_particlePK5param.kd
    .uniform_work_group_size: 1
    .uses_dynamic_stack: false
    .vgpr_count:     24
    .vgpr_spill_count: 0
    .wavefront_size: 64
amdhsa.target:   amdgcn-amd-amdhsa--gfx950
amdhsa.version:
  - 1
  - 2
...

	.end_amdgpu_metadata
